;; amdgpu-corpus repo=ROCm/rocFFT kind=compiled arch=gfx906 opt=O3
	.text
	.amdgcn_target "amdgcn-amd-amdhsa--gfx906"
	.amdhsa_code_object_version 6
	.protected	fft_rtc_back_len1512_factors_2_2_2_3_3_3_7_wgs_63_tpt_63_halfLds_half_ip_CI_unitstride_sbrr_R2C_dirReg ; -- Begin function fft_rtc_back_len1512_factors_2_2_2_3_3_3_7_wgs_63_tpt_63_halfLds_half_ip_CI_unitstride_sbrr_R2C_dirReg
	.globl	fft_rtc_back_len1512_factors_2_2_2_3_3_3_7_wgs_63_tpt_63_halfLds_half_ip_CI_unitstride_sbrr_R2C_dirReg
	.p2align	8
	.type	fft_rtc_back_len1512_factors_2_2_2_3_3_3_7_wgs_63_tpt_63_halfLds_half_ip_CI_unitstride_sbrr_R2C_dirReg,@function
fft_rtc_back_len1512_factors_2_2_2_3_3_3_7_wgs_63_tpt_63_halfLds_half_ip_CI_unitstride_sbrr_R2C_dirReg: ; @fft_rtc_back_len1512_factors_2_2_2_3_3_3_7_wgs_63_tpt_63_halfLds_half_ip_CI_unitstride_sbrr_R2C_dirReg
; %bb.0:
	s_load_dwordx2 s[12:13], s[4:5], 0x50
	s_load_dwordx4 s[8:11], s[4:5], 0x0
	s_load_dwordx2 s[2:3], s[4:5], 0x18
	v_mul_u32_u24_e32 v1, 0x411, v0
	v_add_u32_sdwa v5, s6, v1 dst_sel:DWORD dst_unused:UNUSED_PAD src0_sel:DWORD src1_sel:WORD_1
	v_mov_b32_e32 v3, 0
	s_waitcnt lgkmcnt(0)
	v_cmp_lt_u64_e64 s[0:1], s[10:11], 2
	v_mov_b32_e32 v1, 0
	v_mov_b32_e32 v6, v3
	s_and_b64 vcc, exec, s[0:1]
	v_mov_b32_e32 v2, 0
	s_cbranch_vccnz .LBB0_8
; %bb.1:
	s_load_dwordx2 s[0:1], s[4:5], 0x10
	s_add_u32 s6, s2, 8
	s_addc_u32 s7, s3, 0
	v_mov_b32_e32 v1, 0
	v_mov_b32_e32 v2, 0
	s_waitcnt lgkmcnt(0)
	s_add_u32 s14, s0, 8
	s_addc_u32 s15, s1, 0
	s_mov_b64 s[16:17], 1
.LBB0_2:                                ; =>This Inner Loop Header: Depth=1
	s_load_dwordx2 s[18:19], s[14:15], 0x0
                                        ; implicit-def: $vgpr7_vgpr8
	s_waitcnt lgkmcnt(0)
	v_or_b32_e32 v4, s19, v6
	v_cmp_ne_u64_e32 vcc, 0, v[3:4]
	s_and_saveexec_b64 s[0:1], vcc
	s_xor_b64 s[20:21], exec, s[0:1]
	s_cbranch_execz .LBB0_4
; %bb.3:                                ;   in Loop: Header=BB0_2 Depth=1
	v_cvt_f32_u32_e32 v4, s18
	v_cvt_f32_u32_e32 v7, s19
	s_sub_u32 s0, 0, s18
	s_subb_u32 s1, 0, s19
	v_mac_f32_e32 v4, 0x4f800000, v7
	v_rcp_f32_e32 v4, v4
	v_mul_f32_e32 v4, 0x5f7ffffc, v4
	v_mul_f32_e32 v7, 0x2f800000, v4
	v_trunc_f32_e32 v7, v7
	v_mac_f32_e32 v4, 0xcf800000, v7
	v_cvt_u32_f32_e32 v7, v7
	v_cvt_u32_f32_e32 v4, v4
	v_mul_lo_u32 v8, s0, v7
	v_mul_hi_u32 v9, s0, v4
	v_mul_lo_u32 v11, s1, v4
	v_mul_lo_u32 v10, s0, v4
	v_add_u32_e32 v8, v9, v8
	v_add_u32_e32 v8, v8, v11
	v_mul_hi_u32 v9, v4, v10
	v_mul_lo_u32 v11, v4, v8
	v_mul_hi_u32 v13, v4, v8
	v_mul_hi_u32 v12, v7, v10
	v_mul_lo_u32 v10, v7, v10
	v_mul_hi_u32 v14, v7, v8
	v_add_co_u32_e32 v9, vcc, v9, v11
	v_addc_co_u32_e32 v11, vcc, 0, v13, vcc
	v_mul_lo_u32 v8, v7, v8
	v_add_co_u32_e32 v9, vcc, v9, v10
	v_addc_co_u32_e32 v9, vcc, v11, v12, vcc
	v_addc_co_u32_e32 v10, vcc, 0, v14, vcc
	v_add_co_u32_e32 v8, vcc, v9, v8
	v_addc_co_u32_e32 v9, vcc, 0, v10, vcc
	v_add_co_u32_e32 v4, vcc, v4, v8
	v_addc_co_u32_e32 v7, vcc, v7, v9, vcc
	v_mul_lo_u32 v8, s0, v7
	v_mul_hi_u32 v9, s0, v4
	v_mul_lo_u32 v10, s1, v4
	v_mul_lo_u32 v11, s0, v4
	v_add_u32_e32 v8, v9, v8
	v_add_u32_e32 v8, v8, v10
	v_mul_lo_u32 v12, v4, v8
	v_mul_hi_u32 v13, v4, v11
	v_mul_hi_u32 v14, v4, v8
	;; [unrolled: 1-line block ×3, first 2 shown]
	v_mul_lo_u32 v11, v7, v11
	v_mul_hi_u32 v9, v7, v8
	v_add_co_u32_e32 v12, vcc, v13, v12
	v_addc_co_u32_e32 v13, vcc, 0, v14, vcc
	v_mul_lo_u32 v8, v7, v8
	v_add_co_u32_e32 v11, vcc, v12, v11
	v_addc_co_u32_e32 v10, vcc, v13, v10, vcc
	v_addc_co_u32_e32 v9, vcc, 0, v9, vcc
	v_add_co_u32_e32 v8, vcc, v10, v8
	v_addc_co_u32_e32 v9, vcc, 0, v9, vcc
	v_add_co_u32_e32 v4, vcc, v4, v8
	v_addc_co_u32_e32 v9, vcc, v7, v9, vcc
	v_mad_u64_u32 v[7:8], s[0:1], v5, v9, 0
	v_mul_hi_u32 v10, v5, v4
	v_add_co_u32_e32 v11, vcc, v10, v7
	v_addc_co_u32_e32 v12, vcc, 0, v8, vcc
	v_mad_u64_u32 v[7:8], s[0:1], v6, v4, 0
	v_mad_u64_u32 v[9:10], s[0:1], v6, v9, 0
	v_add_co_u32_e32 v4, vcc, v11, v7
	v_addc_co_u32_e32 v4, vcc, v12, v8, vcc
	v_addc_co_u32_e32 v7, vcc, 0, v10, vcc
	v_add_co_u32_e32 v4, vcc, v4, v9
	v_addc_co_u32_e32 v9, vcc, 0, v7, vcc
	v_mul_lo_u32 v10, s19, v4
	v_mul_lo_u32 v11, s18, v9
	v_mad_u64_u32 v[7:8], s[0:1], s18, v4, 0
	v_add3_u32 v8, v8, v11, v10
	v_sub_u32_e32 v10, v6, v8
	v_mov_b32_e32 v11, s19
	v_sub_co_u32_e32 v7, vcc, v5, v7
	v_subb_co_u32_e64 v10, s[0:1], v10, v11, vcc
	v_subrev_co_u32_e64 v11, s[0:1], s18, v7
	v_subbrev_co_u32_e64 v10, s[0:1], 0, v10, s[0:1]
	v_cmp_le_u32_e64 s[0:1], s19, v10
	v_cndmask_b32_e64 v12, 0, -1, s[0:1]
	v_cmp_le_u32_e64 s[0:1], s18, v11
	v_cndmask_b32_e64 v11, 0, -1, s[0:1]
	v_cmp_eq_u32_e64 s[0:1], s19, v10
	v_cndmask_b32_e64 v10, v12, v11, s[0:1]
	v_add_co_u32_e64 v11, s[0:1], 2, v4
	v_addc_co_u32_e64 v12, s[0:1], 0, v9, s[0:1]
	v_add_co_u32_e64 v13, s[0:1], 1, v4
	v_addc_co_u32_e64 v14, s[0:1], 0, v9, s[0:1]
	v_subb_co_u32_e32 v8, vcc, v6, v8, vcc
	v_cmp_ne_u32_e64 s[0:1], 0, v10
	v_cmp_le_u32_e32 vcc, s19, v8
	v_cndmask_b32_e64 v10, v14, v12, s[0:1]
	v_cndmask_b32_e64 v12, 0, -1, vcc
	v_cmp_le_u32_e32 vcc, s18, v7
	v_cndmask_b32_e64 v7, 0, -1, vcc
	v_cmp_eq_u32_e32 vcc, s19, v8
	v_cndmask_b32_e32 v7, v12, v7, vcc
	v_cmp_ne_u32_e32 vcc, 0, v7
	v_cndmask_b32_e64 v7, v13, v11, s[0:1]
	v_cndmask_b32_e32 v8, v9, v10, vcc
	v_cndmask_b32_e32 v7, v4, v7, vcc
.LBB0_4:                                ;   in Loop: Header=BB0_2 Depth=1
	s_andn2_saveexec_b64 s[0:1], s[20:21]
	s_cbranch_execz .LBB0_6
; %bb.5:                                ;   in Loop: Header=BB0_2 Depth=1
	v_cvt_f32_u32_e32 v4, s18
	s_sub_i32 s20, 0, s18
	v_rcp_iflag_f32_e32 v4, v4
	v_mul_f32_e32 v4, 0x4f7ffffe, v4
	v_cvt_u32_f32_e32 v4, v4
	v_mul_lo_u32 v7, s20, v4
	v_mul_hi_u32 v7, v4, v7
	v_add_u32_e32 v4, v4, v7
	v_mul_hi_u32 v4, v5, v4
	v_mul_lo_u32 v7, v4, s18
	v_add_u32_e32 v8, 1, v4
	v_sub_u32_e32 v7, v5, v7
	v_subrev_u32_e32 v9, s18, v7
	v_cmp_le_u32_e32 vcc, s18, v7
	v_cndmask_b32_e32 v7, v7, v9, vcc
	v_cndmask_b32_e32 v4, v4, v8, vcc
	v_add_u32_e32 v8, 1, v4
	v_cmp_le_u32_e32 vcc, s18, v7
	v_cndmask_b32_e32 v7, v4, v8, vcc
	v_mov_b32_e32 v8, v3
.LBB0_6:                                ;   in Loop: Header=BB0_2 Depth=1
	s_or_b64 exec, exec, s[0:1]
	v_mul_lo_u32 v4, v8, s18
	v_mul_lo_u32 v11, v7, s19
	v_mad_u64_u32 v[9:10], s[0:1], v7, s18, 0
	s_load_dwordx2 s[0:1], s[6:7], 0x0
	s_add_u32 s16, s16, 1
	v_add3_u32 v4, v10, v11, v4
	v_sub_co_u32_e32 v5, vcc, v5, v9
	v_subb_co_u32_e32 v4, vcc, v6, v4, vcc
	s_waitcnt lgkmcnt(0)
	v_mul_lo_u32 v4, s0, v4
	v_mul_lo_u32 v6, s1, v5
	v_mad_u64_u32 v[1:2], s[0:1], s0, v5, v[1:2]
	s_addc_u32 s17, s17, 0
	s_add_u32 s6, s6, 8
	v_add3_u32 v2, v6, v2, v4
	v_mov_b32_e32 v4, s10
	v_mov_b32_e32 v5, s11
	s_addc_u32 s7, s7, 0
	v_cmp_ge_u64_e32 vcc, s[16:17], v[4:5]
	s_add_u32 s14, s14, 8
	s_addc_u32 s15, s15, 0
	s_cbranch_vccnz .LBB0_9
; %bb.7:                                ;   in Loop: Header=BB0_2 Depth=1
	v_mov_b32_e32 v5, v7
	v_mov_b32_e32 v6, v8
	s_branch .LBB0_2
.LBB0_8:
	v_mov_b32_e32 v8, v6
	v_mov_b32_e32 v7, v5
.LBB0_9:
	s_lshl_b64 s[0:1], s[10:11], 3
	s_add_u32 s0, s2, s0
	s_addc_u32 s1, s3, s1
	s_load_dwordx2 s[2:3], s[0:1], 0x0
	s_load_dwordx2 s[6:7], s[4:5], 0x20
                                        ; implicit-def: $vgpr20
                                        ; implicit-def: $vgpr9
                                        ; implicit-def: $vgpr11
                                        ; implicit-def: $vgpr13
                                        ; implicit-def: $vgpr15
                                        ; implicit-def: $vgpr17
                                        ; implicit-def: $vgpr19
	s_waitcnt lgkmcnt(0)
	v_mad_u64_u32 v[3:4], s[0:1], s2, v7, v[1:2]
	s_mov_b32 s0, 0x4104105
	v_mul_hi_u32 v1, v0, s0
	v_mul_lo_u32 v5, s2, v8
	v_mul_lo_u32 v6, s3, v7
	v_cmp_gt_u64_e32 vcc, s[6:7], v[7:8]
	v_mul_u32_u24_e32 v1, 63, v1
	v_cmp_le_u64_e64 s[0:1], s[6:7], v[7:8]
	v_sub_u32_e32 v0, v0, v1
	v_add3_u32 v4, v6, v4, v5
	v_add_u32_e32 v2, 63, v0
                                        ; implicit-def: $vgpr8
                                        ; implicit-def: $vgpr7
                                        ; implicit-def: $vgpr6
	s_and_saveexec_b64 s[2:3], s[0:1]
	s_xor_b64 s[0:1], exec, s[2:3]
; %bb.10:
	v_add_u32_e32 v2, 63, v0
	v_add_u32_e32 v20, 0x7e, v0
	;; [unrolled: 1-line block ×11, first 2 shown]
; %bb.11:
	s_or_saveexec_b64 s[2:3], s[0:1]
	v_lshlrev_b64 v[4:5], 2, v[3:4]
	s_xor_b64 exec, exec, s[2:3]
	s_cbranch_execz .LBB0_13
; %bb.12:
	v_mov_b32_e32 v1, 0
	v_mov_b32_e32 v3, s13
	v_add_co_u32_e64 v8, s[0:1], s12, v4
	v_lshlrev_b64 v[6:7], 2, v[0:1]
	v_addc_co_u32_e64 v3, s[0:1], v3, v5, s[0:1]
	v_add_co_u32_e64 v6, s[0:1], v8, v6
	v_addc_co_u32_e64 v7, s[0:1], v3, v7, s[0:1]
	s_movk_i32 s0, 0x1000
	v_add_co_u32_e64 v8, s[0:1], s0, v6
	global_load_dword v1, v[6:7], off offset:1260
	global_load_dword v3, v[6:7], off offset:1512
	;; [unrolled: 1-line block ×3, first 2 shown]
	global_load_dword v12, v[6:7], off
	global_load_dword v14, v[6:7], off offset:252
	global_load_dword v16, v[6:7], off offset:504
	;; [unrolled: 1-line block ×12, first 2 shown]
	v_addc_co_u32_e64 v9, s[0:1], 0, v7, s[0:1]
	global_load_dword v30, v[6:7], off offset:4032
	global_load_dword v31, v[8:9], off offset:188
	;; [unrolled: 1-line block ×8, first 2 shown]
	v_lshl_add_u32 v6, v0, 2, 0
	v_add_u32_e32 v38, 0x200, v6
	v_add_u32_e32 v20, 0x7e, v0
	;; [unrolled: 1-line block ×19, first 2 shown]
	s_waitcnt vmcnt(17)
	ds_write2_b32 v38, v18, v1 offset0:124 offset1:187
	ds_write2_b32 v39, v3, v10 offset0:122 offset1:185
	ds_write2_b32 v6, v12, v14 offset1:63
	s_waitcnt vmcnt(16)
	ds_write2_b32 v6, v16, v21 offset0:126 offset1:189
	s_waitcnt vmcnt(14)
	ds_write2_b32 v40, v22, v23 offset0:120 offset1:183
	;; [unrolled: 2-line block ×9, first 2 shown]
	v_add_u32_e32 v6, 0x2b5, v0
.LBB0_13:
	s_or_b64 exec, exec, s[2:3]
	v_lshlrev_b32_e32 v1, 2, v0
	v_add_u32_e32 v47, 0, v1
	v_add_u32_e32 v27, 0x800, v47
	;; [unrolled: 1-line block ×3, first 2 shown]
	s_waitcnt lgkmcnt(0)
	; wave barrier
	s_waitcnt lgkmcnt(0)
	v_add_u32_e32 v26, 0x1400, v47
	v_add_u32_e32 v25, 0x600, v47
	v_add_u32_e32 v22, 0x1200, v47
	v_add_u32_e32 v28, 0x400, v47
	v_add_u32_e32 v29, 0x1000, v47
	ds_read2_b32 v[23:24], v3 offset0:124 offset1:187
	v_add_u32_e32 v30, 0xe00, v47
	v_add_u32_e32 v31, 0xc00, v47
	;; [unrolled: 1-line block ×3, first 2 shown]
	ds_read2_b32 v[34:35], v27 offset0:118 offset1:181
	ds_read2_b32 v[36:37], v26 offset0:106 offset1:169
	;; [unrolled: 1-line block ×8, first 2 shown]
	ds_read2_b32 v[52:53], v47 offset1:63
	ds_read2_b32 v[54:55], v33 offset0:116 offset1:179
	ds_read2_b32 v[56:57], v31 offset0:114 offset1:177
	v_add_u32_e32 v3, v47, v1
	s_waitcnt lgkmcnt(0)
	; wave barrier
	s_waitcnt lgkmcnt(0)
	v_pk_add_f16 v10, v52, v54 neg_lo:[0,1] neg_hi:[0,1]
	v_pk_fma_f16 v12, v52, 2.0, v10 op_sel_hi:[1,0,1] neg_lo:[0,0,1] neg_hi:[0,0,1]
	ds_write2_b32 v3, v12, v10 offset1:1
	v_pk_add_f16 v3, v53, v55 neg_lo:[0,1] neg_hi:[0,1]
	v_pk_fma_f16 v10, v53, 2.0, v3 op_sel_hi:[1,0,1] neg_lo:[0,0,1] neg_hi:[0,0,1]
	v_lshl_add_u32 v12, v2, 3, 0
	ds_write2_b32 v12, v10, v3 offset1:1
	v_pk_add_f16 v10, v50, v56 neg_lo:[0,1] neg_hi:[0,1]
	v_lshl_add_u32 v3, v20, 3, 0
	v_pk_fma_f16 v12, v50, 2.0, v10 op_sel_hi:[1,0,1] neg_lo:[0,0,1] neg_hi:[0,0,1]
	ds_write2_b32 v3, v12, v10 offset1:1
	v_pk_add_f16 v10, v51, v57 neg_lo:[0,1] neg_hi:[0,1]
	v_pk_fma_f16 v12, v51, 2.0, v10 op_sel_hi:[1,0,1] neg_lo:[0,0,1] neg_hi:[0,0,1]
	v_lshl_add_u32 v60, v9, 3, 0
	ds_write2_b32 v60, v12, v10 offset1:1
	v_pk_add_f16 v10, v23, v48 neg_lo:[0,1] neg_hi:[0,1]
	v_lshl_add_u32 v55, v11, 3, 0
	;; [unrolled: 8-line block ×5, first 2 shown]
	v_pk_fma_f16 v12, v34, 2.0, v10 op_sel_hi:[1,0,1] neg_lo:[0,0,1] neg_hi:[0,0,1]
	ds_write2_b32 v49, v12, v10 offset1:1
	v_pk_add_f16 v10, v35, v37 neg_lo:[0,1] neg_hi:[0,1]
	v_pk_fma_f16 v12, v35, 2.0, v10 op_sel_hi:[1,0,1] neg_lo:[0,0,1] neg_hi:[0,0,1]
	v_lshl_add_u32 v48, v6, 3, 0
	v_and_b32_e32 v37, 1, v9
	ds_write2_b32 v48, v12, v10 offset1:1
	v_lshlrev_b32_e32 v10, 2, v37
	v_and_b32_e32 v38, 1, v0
	s_waitcnt lgkmcnt(0)
	; wave barrier
	s_waitcnt lgkmcnt(0)
	global_load_dword v10, v10, s[8:9]
	v_lshlrev_b32_e32 v12, 2, v38
	global_load_dword v12, v12, s[8:9]
	v_and_b32_e32 v39, 1, v6
	v_lshlrev_b32_e32 v14, 2, v39
	global_load_dword v14, v14, s[8:9]
	v_and_b32_e32 v40, 1, v8
	v_lshlrev_b32_e32 v16, 2, v40
	global_load_dword v16, v16, s[8:9]
	v_and_b32_e32 v41, 1, v17
	v_lshlrev_b32_e32 v18, 2, v41
	global_load_dword v18, v18, s[8:9]
	v_and_b32_e32 v42, 1, v13
	v_lshlrev_b32_e32 v21, 2, v42
	global_load_dword v21, v21, s[8:9]
	v_and_b32_e32 v43, 1, v2
	v_lshlrev_b32_e32 v23, 2, v43
	global_load_dword v32, v23, s[8:9]
	ds_read2_b32 v[23:24], v31 offset0:114 offset1:177
	ds_read2_b32 v[34:35], v26 offset0:106 offset1:169
	s_mov_b32 s0, 0xffff
	s_movk_i32 s1, 0x7c
	v_lshlrev_b32_e32 v61, 2, v20
	v_lshlrev_b32_e32 v62, 2, v9
	v_lshl_add_u32 v56, v2, 2, 0
	v_sub_u32_e32 v63, v3, v61
	v_lshlrev_b32_e32 v57, 2, v19
	v_lshlrev_b32_e32 v58, 2, v8
	;; [unrolled: 1-line block ×3, first 2 shown]
	v_sub_u32_e32 v93, v50, v58
	v_sub_u32_e32 v94, v49, v59
	s_movk_i32 s2, 0x2fc
	s_movk_i32 s3, 0x3aee
	v_mov_b32_e32 v115, s9
	s_mov_b32 s4, 0xe38f
	s_waitcnt vmcnt(6) lgkmcnt(1)
	v_pk_mul_f16 v36, v24, v10 op_sel:[0,1]
	v_pk_fma_f16 v44, v24, v10, v36 op_sel:[0,0,1] op_sel_hi:[1,1,0]
	v_pk_fma_f16 v45, v24, v10, v36 op_sel:[0,0,1] op_sel_hi:[1,0,0] neg_lo:[0,0,1] neg_hi:[0,0,1]
	s_waitcnt vmcnt(5)
	v_pk_mul_f16 v10, v12, v23 op_sel:[0,1]
	v_pk_fma_f16 v46, v12, v23, v10 op_sel:[0,0,1] op_sel_hi:[1,1,0]
	v_pk_fma_f16 v64, v12, v23, v10 op_sel:[0,0,1] op_sel_hi:[1,0,0] neg_lo:[1,0,0] neg_hi:[1,0,0]
	s_waitcnt vmcnt(4) lgkmcnt(0)
	v_pk_mul_f16 v10, v35, v14 op_sel:[0,1]
	ds_read2_b32 v[23:24], v22 offset0:108 offset1:171
	v_pk_fma_f16 v65, v35, v14, v10 op_sel:[0,0,1] op_sel_hi:[1,1,0]
	v_pk_fma_f16 v66, v35, v14, v10 op_sel:[0,0,1] op_sel_hi:[1,0,0] neg_lo:[0,0,1] neg_hi:[0,0,1]
	v_pk_mul_f16 v10, v34, v12 op_sel:[0,1]
	v_pk_fma_f16 v67, v34, v12, v10 op_sel:[0,0,1] op_sel_hi:[1,1,0]
	v_pk_fma_f16 v68, v34, v12, v10 op_sel:[0,0,1] op_sel_hi:[1,0,0] neg_lo:[0,0,1] neg_hi:[0,0,1]
	ds_read2_b32 v[34:35], v29 offset0:110 offset1:173
	s_waitcnt vmcnt(3) lgkmcnt(1)
	v_pk_mul_f16 v10, v24, v16 op_sel:[0,1]
	v_pk_fma_f16 v69, v24, v16, v10 op_sel:[0,0,1] op_sel_hi:[1,1,0]
	v_pk_fma_f16 v70, v24, v16, v10 op_sel:[0,0,1] op_sel_hi:[1,0,0] neg_lo:[0,0,1] neg_hi:[0,0,1]
	v_pk_mul_f16 v10, v23, v12 op_sel:[0,1]
	v_pk_fma_f16 v71, v23, v12, v10 op_sel:[0,0,1] op_sel_hi:[1,1,0]
	v_pk_fma_f16 v72, v23, v12, v10 op_sel:[0,0,1] op_sel_hi:[1,0,0] neg_lo:[0,0,1] neg_hi:[0,0,1]
	s_waitcnt vmcnt(2) lgkmcnt(0)
	v_pk_mul_f16 v10, v35, v18 op_sel:[0,1]
	ds_read2_b32 v[23:24], v30 offset0:112 offset1:175
	v_pk_fma_f16 v73, v35, v18, v10 op_sel:[0,0,1] op_sel_hi:[1,1,0]
	v_pk_fma_f16 v74, v35, v18, v10 op_sel:[0,0,1] op_sel_hi:[1,0,0] neg_lo:[0,0,1] neg_hi:[0,0,1]
	v_pk_mul_f16 v10, v34, v12 op_sel:[0,1]
	v_pk_fma_f16 v75, v34, v12, v10 op_sel:[0,0,1] op_sel_hi:[1,1,0]
	v_pk_fma_f16 v76, v34, v12, v10 op_sel:[0,0,1] op_sel_hi:[1,0,0] neg_lo:[0,0,1] neg_hi:[0,0,1]
	ds_read2_b32 v[34:35], v33 offset0:116 offset1:179
	s_waitcnt vmcnt(1) lgkmcnt(1)
	v_pk_mul_f16 v10, v24, v21 op_sel:[0,1]
	v_pk_fma_f16 v77, v24, v21, v10 op_sel:[0,0,1] op_sel_hi:[1,1,0]
	v_pk_fma_f16 v78, v24, v21, v10 op_sel:[0,0,1] op_sel_hi:[1,0,0] neg_lo:[0,0,1] neg_hi:[0,0,1]
	v_pk_mul_f16 v10, v23, v12 op_sel:[0,1]
	v_pk_fma_f16 v79, v23, v12, v10 op_sel:[0,0,1] op_sel_hi:[1,1,0]
	v_pk_fma_f16 v80, v23, v12, v10 op_sel:[0,0,1] op_sel_hi:[1,0,0] neg_lo:[0,0,1] neg_hi:[0,0,1]
	s_waitcnt vmcnt(0) lgkmcnt(0)
	v_pk_mul_f16 v10, v32, v35 op_sel:[0,1]
	v_pk_fma_f16 v81, v32, v35, v10 op_sel:[0,0,1] op_sel_hi:[1,1,0]
	v_pk_fma_f16 v82, v32, v35, v10 op_sel:[0,0,1] op_sel_hi:[1,0,0] neg_lo:[1,0,0] neg_hi:[1,0,0]
	v_pk_mul_f16 v10, v12, v34 op_sel:[0,1]
	v_pk_fma_f16 v14, v12, v34, v10 op_sel:[0,0,1] op_sel_hi:[1,1,0]
	v_pk_fma_f16 v10, v12, v34, v10 op_sel:[0,0,1] op_sel_hi:[1,0,0] neg_lo:[1,0,0] neg_hi:[1,0,0]
	v_lshlrev_b32_e32 v21, 1, v0
	v_bfi_b32 v18, s0, v14, v10
	v_and_or_b32 v10, v21, s1, v38
	v_lshl_add_u32 v83, v10, 2, 0
	v_lshlrev_b32_e32 v10, 2, v11
	v_lshlrev_b32_e32 v12, 2, v13
	;; [unrolled: 1-line block ×4, first 2 shown]
	v_sub_u32_e32 v23, v60, v62
	v_sub_u32_e32 v24, v55, v10
	;; [unrolled: 1-line block ×5, first 2 shown]
	ds_read_b32 v36, v47
	ds_read_b32 v84, v56
	;; [unrolled: 1-line block ×8, first 2 shown]
	s_waitcnt lgkmcnt(7)
	v_pk_add_f16 v91, v36, v18 neg_lo:[0,1] neg_hi:[0,1]
	v_bfi_b32 v81, s0, v81, v82
	s_movk_i32 s1, 0xfc
	v_lshlrev_b32_e32 v82, 1, v2
	v_pk_fma_f16 v92, v36, 2.0, v91 op_sel_hi:[1,0,1] neg_lo:[0,0,1] neg_hi:[0,0,1]
	v_sub_u32_e32 v36, v51, v57
	v_lshlrev_b32_e32 v18, 2, v6
	v_and_or_b32 v43, v82, s1, v43
	s_waitcnt lgkmcnt(6)
	v_pk_add_f16 v81, v84, v81 neg_lo:[0,1] neg_hi:[0,1]
	v_sub_u32_e32 v95, v48, v18
	ds_read_b32 v96, v36
	ds_read_b32 v97, v93
	;; [unrolled: 1-line block ×4, first 2 shown]
	s_waitcnt lgkmcnt(0)
	; wave barrier
	s_waitcnt lgkmcnt(0)
	ds_write2_b32 v83, v92, v91 offset1:2
	v_lshl_add_u32 v43, v43, 2, 0
	v_pk_fma_f16 v83, v84, 2.0, v81 op_sel_hi:[1,0,1] neg_lo:[0,0,1] neg_hi:[0,0,1]
	ds_write2_b32 v43, v83, v81 offset1:2
	v_bfi_b32 v43, s0, v46, v64
	s_movk_i32 s1, 0x1fc
	v_lshlrev_b32_e32 v46, 1, v20
	v_and_or_b32 v64, v46, s1, v38
	v_pk_add_f16 v43, v85, v43 neg_lo:[0,1] neg_hi:[0,1]
	v_lshl_add_u32 v64, v64, 2, 0
	v_pk_fma_f16 v81, v85, 2.0, v43 op_sel_hi:[1,0,1] neg_lo:[0,0,1] neg_hi:[0,0,1]
	ds_write2_b32 v64, v81, v43 offset1:2
	v_bfi_b32 v43, s0, v44, v45
	v_lshlrev_b32_e32 v44, 1, v9
	v_and_or_b32 v37, v44, s1, v37
	v_pk_add_f16 v43, v86, v43 neg_lo:[0,1] neg_hi:[0,1]
	v_lshl_add_u32 v37, v37, 2, 0
	v_pk_fma_f16 v45, v86, 2.0, v43 op_sel_hi:[1,0,1] neg_lo:[0,0,1] neg_hi:[0,0,1]
	ds_write2_b32 v37, v45, v43 offset1:2
	v_bfi_b32 v37, s0, v79, v80
	s_movk_i32 s1, 0x3fc
	v_lshlrev_b32_e32 v43, 1, v11
	v_and_or_b32 v45, v43, s1, v38
	v_pk_add_f16 v37, v87, v37 neg_lo:[0,1] neg_hi:[0,1]
	v_lshl_add_u32 v45, v45, 2, 0
	v_pk_fma_f16 v64, v87, 2.0, v37 op_sel_hi:[1,0,1] neg_lo:[0,0,1] neg_hi:[0,0,1]
	ds_write2_b32 v45, v64, v37 offset1:2
	v_bfi_b32 v37, s0, v77, v78
	v_lshlrev_b32_e32 v45, 1, v13
	v_and_or_b32 v42, v45, s2, v42
	v_pk_add_f16 v37, v88, v37 neg_lo:[0,1] neg_hi:[0,1]
	v_lshl_add_u32 v42, v42, 2, 0
	v_pk_fma_f16 v64, v88, 2.0, v37 op_sel_hi:[1,0,1] neg_lo:[0,0,1] neg_hi:[0,0,1]
	ds_write2_b32 v42, v64, v37 offset1:2
	v_bfi_b32 v37, s0, v75, v76
	;; [unrolled: 7-line block ×4, first 2 shown]
	s_movk_i32 s1, 0x7fc
	v_lshlrev_b32_e32 v41, 1, v19
	v_and_or_b32 v71, v41, s1, v38
	v_pk_add_f16 v37, v96, v37 neg_lo:[0,1] neg_hi:[0,1]
	v_lshl_add_u32 v71, v71, 2, 0
	v_pk_fma_f16 v72, v96, 2.0, v37 op_sel_hi:[1,0,1] neg_lo:[0,0,1] neg_hi:[0,0,1]
	ds_write2_b32 v71, v72, v37 offset1:2
	v_bfi_b32 v37, s0, v69, v70
	s_movk_i32 s1, 0x4fc
	v_lshlrev_b32_e32 v69, 1, v8
	v_and_or_b32 v40, v69, s1, v40
	v_pk_add_f16 v37, v97, v37 neg_lo:[0,1] neg_hi:[0,1]
	v_lshl_add_u32 v40, v40, 2, 0
	v_pk_fma_f16 v70, v97, 2.0, v37 op_sel_hi:[1,0,1] neg_lo:[0,0,1] neg_hi:[0,0,1]
	ds_write2_b32 v40, v70, v37 offset1:2
	v_bfi_b32 v37, s0, v67, v68
	;; [unrolled: 8-line block ×3, first 2 shown]
	v_lshlrev_b32_e32 v65, 1, v6
	v_and_or_b32 v38, v65, s1, v39
	v_pk_add_f16 v37, v99, v37 neg_lo:[0,1] neg_hi:[0,1]
	v_lshl_add_u32 v38, v38, 2, 0
	v_pk_fma_f16 v39, v99, 2.0, v37 op_sel_hi:[1,0,1] neg_lo:[0,0,1] neg_hi:[0,0,1]
	v_and_b32_e32 v66, 3, v6
	v_and_b32_e32 v68, 3, v7
	ds_write2_b32 v38, v39, v37 offset1:2
	v_lshlrev_b32_e32 v37, 2, v66
	v_lshlrev_b32_e32 v38, 2, v68
	v_and_b32_e32 v72, 3, v17
	v_and_b32_e32 v73, 3, v8
	s_waitcnt lgkmcnt(0)
	; wave barrier
	s_waitcnt lgkmcnt(0)
	global_load_dword v70, v37, s[8:9] offset:8
	global_load_dword v71, v38, s[8:9] offset:8
	v_lshlrev_b32_e32 v37, 2, v72
	v_lshlrev_b32_e32 v38, 2, v73
	global_load_dword v74, v38, s[8:9] offset:8
	global_load_dword v76, v37, s[8:9] offset:8
	v_and_b32_e32 v75, 3, v15
	v_lshlrev_b32_e32 v37, 2, v75
	v_and_b32_e32 v77, 3, v9
	v_lshlrev_b32_e32 v38, 2, v77
	global_load_dword v78, v37, s[8:9] offset:8
	global_load_dword v79, v38, s[8:9] offset:8
	v_and_b32_e32 v80, 3, v13
	v_lshlrev_b32_e32 v37, 2, v80
	v_and_b32_e32 v83, 3, v20
	global_load_dword v81, v37, s[8:9] offset:8
	v_lshlrev_b32_e32 v37, 2, v83
	v_and_b32_e32 v85, 3, v2
	global_load_dword v84, v37, s[8:9] offset:8
	;; [unrolled: 3-line block ×3, first 2 shown]
	v_lshlrev_b32_e32 v37, 2, v87
	global_load_dword v88, v37, s[8:9] offset:8
	ds_read2_b32 v[37:38], v26 offset0:106 offset1:169
	ds_read2_b32 v[39:40], v29 offset0:110 offset1:173
	s_movk_i32 s1, 0x78
	s_movk_i32 s2, 0x2f8
	s_waitcnt vmcnt(9) lgkmcnt(1)
	v_pk_mul_f16 v89, v38, v70 op_sel:[0,1]
	v_pk_fma_f16 v90, v38, v70, v89 op_sel:[0,0,1] op_sel_hi:[1,1,0]
	v_pk_fma_f16 v70, v38, v70, v89 op_sel:[0,0,1] op_sel_hi:[1,0,0] neg_lo:[0,0,1] neg_hi:[0,0,1]
	s_waitcnt vmcnt(8)
	v_pk_mul_f16 v38, v37, v71 op_sel:[0,1]
	v_pk_fma_f16 v89, v37, v71, v38 op_sel:[0,0,1] op_sel_hi:[1,1,0]
	v_pk_fma_f16 v71, v37, v71, v38 op_sel:[0,0,1] op_sel_hi:[1,0,0] neg_lo:[0,0,1] neg_hi:[0,0,1]
	s_waitcnt vmcnt(6) lgkmcnt(0)
	v_pk_mul_f16 v91, v40, v76 op_sel:[0,1]
	ds_read2_b32 v[37:38], v31 offset0:114 offset1:177
	v_pk_fma_f16 v92, v40, v76, v91 op_sel:[0,0,1] op_sel_hi:[1,1,0]
	v_pk_fma_f16 v76, v40, v76, v91 op_sel:[0,0,1] op_sel_hi:[1,0,0] neg_lo:[0,0,1] neg_hi:[0,0,1]
	s_waitcnt vmcnt(5)
	v_pk_mul_f16 v40, v39, v78 op_sel:[0,1]
	v_pk_fma_f16 v91, v39, v78, v40 op_sel:[0,0,1] op_sel_hi:[1,1,0]
	v_pk_fma_f16 v78, v39, v78, v40 op_sel:[0,0,1] op_sel_hi:[1,0,0] neg_lo:[0,0,1] neg_hi:[0,0,1]
	ds_read2_b32 v[39:40], v33 offset0:116 offset1:179
	s_waitcnt vmcnt(4) lgkmcnt(1)
	v_pk_mul_f16 v96, v38, v79 op_sel:[0,1]
	v_pk_fma_f16 v97, v38, v79, v96 op_sel:[0,0,1] op_sel_hi:[1,1,0]
	v_pk_fma_f16 v79, v38, v79, v96 op_sel:[0,0,1] op_sel_hi:[1,0,0] neg_lo:[0,0,1] neg_hi:[0,0,1]
	s_waitcnt vmcnt(2)
	v_pk_mul_f16 v38, v84, v37 op_sel:[0,1]
	v_pk_fma_f16 v96, v84, v37, v38 op_sel:[0,0,1] op_sel_hi:[1,1,0]
	v_pk_fma_f16 v84, v84, v37, v38 op_sel:[0,0,1] op_sel_hi:[1,0,0] neg_lo:[1,0,0] neg_hi:[1,0,0]
	s_waitcnt vmcnt(1) lgkmcnt(0)
	v_pk_mul_f16 v98, v86, v40 op_sel:[0,1]
	ds_read2_b32 v[37:38], v22 offset0:108 offset1:171
	v_pk_fma_f16 v99, v86, v40, v98 op_sel:[0,0,1] op_sel_hi:[1,1,0]
	v_pk_fma_f16 v22, v86, v40, v98 op_sel:[0,0,1] op_sel_hi:[1,0,0] neg_lo:[1,0,0] neg_hi:[1,0,0]
	s_waitcnt vmcnt(0)
	v_pk_mul_f16 v40, v88, v39 op_sel:[0,1]
	v_pk_fma_f16 v86, v88, v39, v40 op_sel:[0,0,1] op_sel_hi:[1,1,0]
	v_pk_fma_f16 v98, v88, v39, v40 op_sel:[0,0,1] op_sel_hi:[1,0,0] neg_lo:[1,0,0] neg_hi:[1,0,0]
	ds_read2_b32 v[39:40], v30 offset0:112 offset1:175
	s_waitcnt lgkmcnt(1)
	v_pk_mul_f16 v100, v38, v74 op_sel:[0,1]
	v_pk_fma_f16 v101, v38, v74, v100 op_sel:[0,0,1] op_sel_hi:[1,1,0]
	v_pk_fma_f16 v38, v38, v74, v100 op_sel:[0,0,1] op_sel_hi:[1,0,0] neg_lo:[0,0,1] neg_hi:[0,0,1]
	v_pk_mul_f16 v74, v37, v88 op_sel:[0,1]
	v_pk_fma_f16 v100, v37, v88, v74 op_sel:[0,0,1] op_sel_hi:[1,1,0]
	v_pk_fma_f16 v37, v37, v88, v74 op_sel:[0,0,1] op_sel_hi:[1,0,0] neg_lo:[0,0,1] neg_hi:[0,0,1]
	s_waitcnt lgkmcnt(0)
	v_pk_mul_f16 v74, v40, v81 op_sel:[0,1]
	v_pk_fma_f16 v102, v40, v81, v74 op_sel:[0,0,1] op_sel_hi:[1,1,0]
	v_pk_fma_f16 v40, v40, v81, v74 op_sel:[0,0,1] op_sel_hi:[1,0,0] neg_lo:[0,0,1] neg_hi:[0,0,1]
	v_pk_mul_f16 v74, v39, v88 op_sel:[0,1]
	v_pk_fma_f16 v81, v39, v88, v74 op_sel:[0,0,1] op_sel_hi:[1,1,0]
	v_pk_fma_f16 v39, v39, v88, v74 op_sel:[0,0,1] op_sel_hi:[1,0,0] neg_lo:[0,0,1] neg_hi:[0,0,1]
	v_bfi_b32 v74, s0, v86, v98
	ds_read_b32 v86, v94
	ds_read_b32 v88, v95
	v_and_or_b32 v94, v21, s1, v87
	ds_read_b32 v95, v47
	ds_read_b32 v98, v56
	;; [unrolled: 1-line block ×8, first 2 shown]
	s_waitcnt lgkmcnt(7)
	v_pk_add_f16 v74, v95, v74 neg_lo:[0,1] neg_hi:[0,1]
	v_lshl_add_u32 v94, v94, 2, 0
	v_pk_fma_f16 v95, v95, 2.0, v74 op_sel_hi:[1,0,1] neg_lo:[0,0,1] neg_hi:[0,0,1]
	s_movk_i32 s1, 0xf8
	v_bfi_b32 v22, s0, v99, v22
	ds_read_b32 v93, v93
	ds_read_b32 v109, v36
	s_waitcnt lgkmcnt(0)
	; wave barrier
	s_waitcnt lgkmcnt(0)
	ds_write2_b32 v94, v95, v74 offset1:4
	v_and_or_b32 v74, v82, s1, v85
	v_pk_add_f16 v22, v98, v22 neg_lo:[0,1] neg_hi:[0,1]
	v_lshl_add_u32 v74, v74, 2, 0
	v_pk_fma_f16 v82, v98, 2.0, v22 op_sel_hi:[1,0,1] neg_lo:[0,0,1] neg_hi:[0,0,1]
	s_movk_i32 s1, 0x1f8
	ds_write2_b32 v74, v82, v22 offset1:4
	v_and_or_b32 v22, v46, s1, v83
	v_bfi_b32 v46, s0, v96, v84
	v_pk_add_f16 v46, v103, v46 neg_lo:[0,1] neg_hi:[0,1]
	v_lshl_add_u32 v22, v22, 2, 0
	v_pk_fma_f16 v74, v103, 2.0, v46 op_sel_hi:[1,0,1] neg_lo:[0,0,1] neg_hi:[0,0,1]
	ds_write2_b32 v22, v74, v46 offset1:4
	v_and_or_b32 v22, v44, s1, v77
	v_bfi_b32 v44, s0, v97, v79
	v_pk_add_f16 v44, v104, v44 neg_lo:[0,1] neg_hi:[0,1]
	v_lshl_add_u32 v22, v22, 2, 0
	v_pk_fma_f16 v46, v104, 2.0, v44 op_sel_hi:[1,0,1] neg_lo:[0,0,1] neg_hi:[0,0,1]
	ds_write2_b32 v22, v46, v44 offset1:4
	v_bfi_b32 v22, s0, v81, v39
	s_movk_i32 s1, 0x3f8
	v_and_or_b32 v39, v43, s1, v87
	v_pk_add_f16 v22, v105, v22 neg_lo:[0,1] neg_hi:[0,1]
	v_lshl_add_u32 v39, v39, 2, 0
	v_pk_fma_f16 v43, v105, 2.0, v22 op_sel_hi:[1,0,1] neg_lo:[0,0,1] neg_hi:[0,0,1]
	ds_write2_b32 v39, v43, v22 offset1:4
	v_bfi_b32 v39, s0, v102, v40
	v_and_or_b32 v22, v45, s2, v80
	v_pk_add_f16 v39, v106, v39 neg_lo:[0,1] neg_hi:[0,1]
	v_lshl_add_u32 v22, v22, 2, 0
	v_pk_fma_f16 v40, v106, 2.0, v39 op_sel_hi:[1,0,1] neg_lo:[0,0,1] neg_hi:[0,0,1]
	ds_write2_b32 v22, v40, v39 offset1:4
	v_bfi_b32 v39, s0, v91, v78
	;; [unrolled: 6-line block ×3, first 2 shown]
	v_and_or_b32 v22, v64, s1, v72
	v_pk_add_f16 v39, v108, v39 neg_lo:[0,1] neg_hi:[0,1]
	v_lshl_add_u32 v22, v22, 2, 0
	v_pk_fma_f16 v40, v108, 2.0, v39 op_sel_hi:[1,0,1] neg_lo:[0,0,1] neg_hi:[0,0,1]
	s_movk_i32 s1, 0x7f8
	v_bfi_b32 v37, s0, v100, v37
	ds_write2_b32 v22, v40, v39 offset1:4
	v_and_or_b32 v22, v41, s1, v87
	v_pk_add_f16 v37, v109, v37 neg_lo:[0,1] neg_hi:[0,1]
	v_lshl_add_u32 v22, v22, 2, 0
	v_pk_fma_f16 v39, v109, 2.0, v37 op_sel_hi:[1,0,1] neg_lo:[0,0,1] neg_hi:[0,0,1]
	ds_write2_b32 v22, v39, v37 offset1:4
	s_movk_i32 s1, 0x4f8
	v_bfi_b32 v37, s0, v101, v38
	v_and_or_b32 v22, v69, s1, v73
	v_pk_add_f16 v37, v93, v37 neg_lo:[0,1] neg_hi:[0,1]
	v_lshl_add_u32 v22, v22, 2, 0
	v_pk_fma_f16 v38, v93, 2.0, v37 op_sel_hi:[1,0,1] neg_lo:[0,0,1] neg_hi:[0,0,1]
	ds_write2_b32 v22, v38, v37 offset1:4
	s_movk_i32 s1, 0x5f8
	v_bfi_b32 v37, s0, v89, v71
	v_and_or_b32 v22, v67, s1, v68
	v_pk_add_f16 v37, v86, v37 neg_lo:[0,1] neg_hi:[0,1]
	v_lshl_add_u32 v22, v22, 2, 0
	v_pk_fma_f16 v38, v86, 2.0, v37 op_sel_hi:[1,0,1] neg_lo:[0,0,1] neg_hi:[0,0,1]
	ds_write2_b32 v22, v38, v37 offset1:4
	v_bfi_b32 v37, s0, v90, v70
	v_and_or_b32 v22, v65, s1, v66
	v_pk_add_f16 v37, v88, v37 neg_lo:[0,1] neg_hi:[0,1]
	v_lshl_add_u32 v22, v22, 2, 0
	v_pk_fma_f16 v38, v88, 2.0, v37 op_sel_hi:[1,0,1] neg_lo:[0,0,1] neg_hi:[0,0,1]
	v_and_b32_e32 v46, 7, v2
	ds_write2_b32 v22, v38, v37 offset1:4
	v_lshlrev_b32_e32 v22, 3, v46
	s_waitcnt lgkmcnt(0)
	; wave barrier
	s_waitcnt lgkmcnt(0)
	global_load_dwordx2 v[38:39], v22, s[8:9] offset:24
	v_and_b32_e32 v76, 7, v20
	v_lshlrev_b32_e32 v22, 3, v76
	global_load_dwordx2 v[40:41], v22, s[8:9] offset:24
	v_and_b32_e32 v22, 7, v9
	v_lshlrev_b32_e32 v37, 3, v22
	global_load_dwordx2 v[42:43], v37, s[8:9] offset:24
	v_and_b32_e32 v79, 7, v0
	v_and_b32_e32 v77, 7, v11
	v_lshlrev_b32_e32 v68, 3, v79
	global_load_dwordx2 v[68:69], v68, s[8:9] offset:24
	v_lshlrev_b32_e32 v37, 3, v77
	global_load_dwordx2 v[44:45], v37, s[8:9] offset:24
	v_and_b32_e32 v80, 7, v17
	v_and_b32_e32 v78, 7, v13
	v_lshlrev_b32_e32 v72, 3, v80
	global_load_dwordx2 v[72:73], v72, s[8:9] offset:24
	v_lshlrev_b32_e32 v37, 3, v78
	global_load_dwordx2 v[64:65], v37, s[8:9] offset:24
	v_and_b32_e32 v37, 7, v15
	v_lshlrev_b32_e32 v66, 3, v37
	global_load_dwordx2 v[66:67], v66, s[8:9] offset:24
	ds_read2_b32 v[70:71], v27 offset0:55 offset1:118
	ds_read2_b32 v[74:75], v29 offset0:47 offset1:110
	ds_read_b32 v91, v36
	s_mov_b32 s2, 0xbaee
	s_movk_i32 s0, 0xab
	s_waitcnt lgkmcnt(2)
	v_lshrrev_b32_e32 v81, 16, v70
	s_mov_b32 s1, 0xaaab
	s_waitcnt vmcnt(7)
	v_mul_f16_sdwa v82, v38, v70 dst_sel:DWORD dst_unused:UNUSED_PAD src0_sel:WORD_1 src1_sel:DWORD
	v_fma_f16 v82, v38, v81, -v82
	v_mul_f16_sdwa v81, v38, v81 dst_sel:DWORD dst_unused:UNUSED_PAD src0_sel:WORD_1 src1_sel:DWORD
	v_fma_f16 v70, v38, v70, v81
	s_waitcnt lgkmcnt(1)
	v_lshrrev_b32_e32 v38, 16, v74
	v_mul_f16_sdwa v81, v74, v39 dst_sel:DWORD dst_unused:UNUSED_PAD src0_sel:DWORD src1_sel:WORD_1
	v_fma_f16 v81, v38, v39, -v81
	v_mul_f16_sdwa v38, v38, v39 dst_sel:DWORD dst_unused:UNUSED_PAD src0_sel:DWORD src1_sel:WORD_1
	v_fma_f16 v74, v74, v39, v38
	v_lshrrev_b32_e32 v38, 16, v71
	s_waitcnt vmcnt(6)
	v_mul_f16_sdwa v39, v38, v40 dst_sel:DWORD dst_unused:UNUSED_PAD src0_sel:DWORD src1_sel:WORD_1
	v_fma_f16 v83, v71, v40, v39
	v_mul_f16_sdwa v39, v71, v40 dst_sel:DWORD dst_unused:UNUSED_PAD src0_sel:DWORD src1_sel:WORD_1
	v_fma_f16 v71, v38, v40, -v39
	v_lshrrev_b32_e32 v40, 16, v75
	ds_read2_b32 v[38:39], v27 offset0:181 offset1:244
	v_mul_f16_sdwa v84, v40, v41 dst_sel:DWORD dst_unused:UNUSED_PAD src0_sel:DWORD src1_sel:WORD_1
	v_fma_f16 v84, v75, v41, v84
	v_mul_f16_sdwa v75, v75, v41 dst_sel:DWORD dst_unused:UNUSED_PAD src0_sel:DWORD src1_sel:WORD_1
	v_fma_f16 v75, v40, v41, -v75
	ds_read2_b32 v[40:41], v29 offset0:173 offset1:236
	s_waitcnt lgkmcnt(1)
	v_lshrrev_b32_e32 v85, 16, v38
	s_waitcnt vmcnt(5)
	v_mul_f16_sdwa v86, v38, v42 dst_sel:DWORD dst_unused:UNUSED_PAD src0_sel:DWORD src1_sel:WORD_1
	v_fma_f16 v86, v85, v42, -v86
	v_mul_f16_sdwa v85, v85, v42 dst_sel:DWORD dst_unused:UNUSED_PAD src0_sel:DWORD src1_sel:WORD_1
	v_fma_f16 v42, v38, v42, v85
	s_waitcnt lgkmcnt(0)
	v_lshrrev_b32_e32 v38, 16, v40
	v_mul_f16_sdwa v85, v40, v43 dst_sel:DWORD dst_unused:UNUSED_PAD src0_sel:DWORD src1_sel:WORD_1
	v_fma_f16 v85, v38, v43, -v85
	v_mul_f16_sdwa v38, v38, v43 dst_sel:DWORD dst_unused:UNUSED_PAD src0_sel:DWORD src1_sel:WORD_1
	v_fma_f16 v43, v40, v43, v38
	v_lshrrev_b32_e32 v38, 16, v39
	s_waitcnt vmcnt(3)
	v_mul_f16_sdwa v40, v38, v44 dst_sel:DWORD dst_unused:UNUSED_PAD src0_sel:DWORD src1_sel:WORD_1
	v_fma_f16 v87, v39, v44, v40
	v_mul_f16_sdwa v39, v39, v44 dst_sel:DWORD dst_unused:UNUSED_PAD src0_sel:DWORD src1_sel:WORD_1
	v_lshrrev_b32_e32 v40, 16, v41
	v_fma_f16 v44, v38, v44, -v39
	ds_read2_b32 v[38:39], v31 offset0:51 offset1:114
	v_mul_f16_sdwa v88, v40, v45 dst_sel:DWORD dst_unused:UNUSED_PAD src0_sel:DWORD src1_sel:WORD_1
	v_fma_f16 v88, v41, v45, v88
	v_mul_f16_sdwa v41, v41, v45 dst_sel:DWORD dst_unused:UNUSED_PAD src0_sel:DWORD src1_sel:WORD_1
	v_fma_f16 v45, v40, v45, -v41
	ds_read2_b32 v[40:41], v26 offset0:43 offset1:106
	s_waitcnt lgkmcnt(1)
	v_lshrrev_b32_e32 v89, 16, v38
	s_waitcnt vmcnt(1)
	v_mul_f16_sdwa v90, v38, v64 dst_sel:DWORD dst_unused:UNUSED_PAD src0_sel:DWORD src1_sel:WORD_1
	v_fma_f16 v90, v89, v64, -v90
	v_mul_f16_sdwa v89, v89, v64 dst_sel:DWORD dst_unused:UNUSED_PAD src0_sel:DWORD src1_sel:WORD_1
	v_fma_f16 v64, v38, v64, v89
	s_waitcnt lgkmcnt(0)
	v_lshrrev_b32_e32 v38, 16, v40
	v_mul_f16_sdwa v89, v40, v65 dst_sel:DWORD dst_unused:UNUSED_PAD src0_sel:DWORD src1_sel:WORD_1
	v_fma_f16 v89, v38, v65, -v89
	v_mul_f16_sdwa v38, v38, v65 dst_sel:DWORD dst_unused:UNUSED_PAD src0_sel:DWORD src1_sel:WORD_1
	v_fma_f16 v40, v40, v65, v38
	v_lshrrev_b32_e32 v38, 16, v39
	s_waitcnt vmcnt(0)
	v_mul_f16_sdwa v65, v38, v66 dst_sel:DWORD dst_unused:UNUSED_PAD src0_sel:DWORD src1_sel:WORD_1
	v_fma_f16 v65, v39, v66, v65
	v_mul_f16_sdwa v39, v39, v66 dst_sel:DWORD dst_unused:UNUSED_PAD src0_sel:DWORD src1_sel:WORD_1
	v_fma_f16 v66, v38, v66, -v39
	v_lshrrev_b32_e32 v38, 16, v41
	v_mul_f16_sdwa v39, v38, v67 dst_sel:DWORD dst_unused:UNUSED_PAD src0_sel:DWORD src1_sel:WORD_1
	v_fma_f16 v92, v41, v67, v39
	v_mul_f16_sdwa v39, v41, v67 dst_sel:DWORD dst_unused:UNUSED_PAD src0_sel:DWORD src1_sel:WORD_1
	v_fma_f16 v41, v38, v67, -v39
	ds_read_b32 v67, v35
	ds_read2_b32 v[38:39], v31 offset0:177 offset1:240
	v_lshrrev_b32_e32 v93, 16, v91
	v_mul_f16_sdwa v94, v68, v93 dst_sel:DWORD dst_unused:UNUSED_PAD src0_sel:WORD_1 src1_sel:DWORD
	v_fma_f16 v94, v68, v91, v94
	v_mul_f16_sdwa v91, v68, v91 dst_sel:DWORD dst_unused:UNUSED_PAD src0_sel:WORD_1 src1_sel:DWORD
	v_fma_f16 v68, v68, v93, -v91
	s_waitcnt lgkmcnt(0)
	v_lshrrev_b32_e32 v91, 16, v39
	v_mul_f16_sdwa v93, v69, v39 dst_sel:DWORD dst_unused:UNUSED_PAD src0_sel:WORD_1 src1_sel:DWORD
	v_fma_f16 v93, v69, v91, -v93
	v_mul_f16_sdwa v91, v69, v91 dst_sel:DWORD dst_unused:UNUSED_PAD src0_sel:WORD_1 src1_sel:DWORD
	v_fma_f16 v39, v69, v39, v91
	v_lshrrev_b32_e32 v69, 16, v38
	v_mul_f16_sdwa v91, v69, v72 dst_sel:DWORD dst_unused:UNUSED_PAD src0_sel:DWORD src1_sel:WORD_1
	v_fma_f16 v91, v38, v72, v91
	v_mul_f16_sdwa v38, v38, v72 dst_sel:DWORD dst_unused:UNUSED_PAD src0_sel:DWORD src1_sel:WORD_1
	v_fma_f16 v38, v69, v72, -v38
	ds_read_b32 v69, v47 offset:5796
	ds_read_b32 v72, v23
	ds_read_b32 v95, v24
	;; [unrolled: 1-line block ×7, first 2 shown]
	s_waitcnt lgkmcnt(7)
	v_lshrrev_b32_e32 v101, 16, v69
	v_mul_f16_sdwa v102, v101, v73 dst_sel:DWORD dst_unused:UNUSED_PAD src0_sel:DWORD src1_sel:WORD_1
	v_fma_f16 v102, v69, v73, v102
	v_mul_f16_sdwa v69, v69, v73 dst_sel:DWORD dst_unused:UNUSED_PAD src0_sel:DWORD src1_sel:WORD_1
	v_fma_f16 v69, v101, v73, -v69
	s_waitcnt lgkmcnt(0)
	v_lshrrev_b32_e32 v73, 16, v100
	v_add_f16_e32 v101, v73, v68
	v_add_f16_e32 v101, v101, v93
	v_sub_f16_e32 v103, v68, v93
	v_add_f16_e32 v68, v68, v93
	v_add_f16_e32 v93, v100, v94
	v_fma_f16 v68, v68, -0.5, v73
	v_add_f16_e32 v73, v94, v39
	v_add_f16_e32 v93, v93, v39
	v_sub_f16_e32 v39, v94, v39
	v_lshrrev_b32_e32 v94, 3, v0
	v_fma_f16 v73, v73, -0.5, v100
	v_mul_u32_u24_e32 v94, 24, v94
	v_or_b32_e32 v79, v94, v79
	v_fma_f16 v94, v103, s2, v73
	v_fma_f16 v100, v39, s3, v68
	;; [unrolled: 1-line block ×4, first 2 shown]
	v_lshl_add_u32 v79, v79, 2, 0
	v_pack_b32_f16 v39, v73, v39
	s_waitcnt lgkmcnt(0)
	; wave barrier
	ds_write_b32 v79, v39 offset:64
	v_lshrrev_b32_e32 v39, 16, v99
	v_pack_b32_f16 v93, v93, v101
	v_pack_b32_f16 v94, v94, v100
	v_add_f16_e32 v68, v39, v82
	ds_write2_b32 v79, v93, v94 offset1:8
	v_add_f16_e32 v68, v68, v81
	v_sub_f16_e32 v73, v82, v81
	v_add_f16_e32 v79, v82, v81
	v_lshrrev_b32_e32 v81, 3, v2
	v_mul_lo_u32 v81, v81, 24
	v_fma_f16 v39, v79, -0.5, v39
	v_add_f16_e32 v79, v70, v74
	v_fma_f16 v79, v79, -0.5, v99
	v_add_f16_e32 v82, v99, v70
	v_sub_f16_e32 v70, v70, v74
	v_add_f16_e32 v82, v82, v74
	v_or_b32_e32 v46, v81, v46
	v_fma_f16 v74, v73, s2, v79
	v_fma_f16 v81, v70, s3, v39
	v_pack_b32_f16 v68, v82, v68
	v_pack_b32_f16 v74, v74, v81
	v_lshl_add_u32 v46, v46, 2, 0
	ds_write2_b32 v46, v68, v74 offset1:8
	v_fma_f16 v68, v73, s3, v79
	v_fma_f16 v39, v70, s2, v39
	v_pack_b32_f16 v39, v68, v39
	ds_write_b32 v46, v39 offset:64
	v_lshrrev_b32_e32 v39, 16, v98
	v_add_f16_e32 v46, v39, v71
	v_sub_f16_e32 v68, v71, v75
	v_add_f16_e32 v70, v71, v75
	v_lshrrev_b32_e32 v71, 3, v20
	v_mul_lo_u32 v71, v71, 24
	v_fma_f16 v39, v70, -0.5, v39
	v_add_f16_e32 v70, v83, v84
	v_add_f16_e32 v73, v98, v83
	;; [unrolled: 1-line block ×3, first 2 shown]
	v_fma_f16 v70, v70, -0.5, v98
	v_add_f16_e32 v73, v73, v84
	v_sub_f16_e32 v74, v83, v84
	v_or_b32_e32 v71, v71, v76
	v_pack_b32_f16 v46, v73, v46
	v_fma_f16 v73, v68, s2, v70
	v_fma_f16 v75, v74, s3, v39
	v_pack_b32_f16 v73, v73, v75
	v_lshl_add_u32 v71, v71, 2, 0
	ds_write2_b32 v71, v46, v73 offset1:8
	v_fma_f16 v46, v68, s3, v70
	v_fma_f16 v39, v74, s2, v39
	v_pack_b32_f16 v39, v46, v39
	ds_write_b32 v71, v39 offset:64
	v_lshrrev_b32_e32 v71, 3, v9
	v_lshrrev_b32_e32 v39, 16, v72
	v_add_f16_e32 v70, v86, v85
	v_mul_lo_u32 v71, v71, 24
	v_add_f16_e32 v46, v39, v86
	v_fma_f16 v39, v70, -0.5, v39
	v_add_f16_e32 v70, v42, v43
	v_fma_f16 v70, v70, -0.5, v72
	v_add_f16_e32 v72, v72, v42
	v_add_f16_e32 v46, v46, v85
	v_sub_f16_e32 v68, v86, v85
	v_add_f16_e32 v72, v72, v43
	v_sub_f16_e32 v42, v42, v43
	v_or_b32_e32 v22, v71, v22
	v_pack_b32_f16 v43, v72, v46
	v_fma_f16 v46, v68, s2, v70
	v_fma_f16 v71, v42, s3, v39
	v_pack_b32_f16 v46, v46, v71
	v_lshl_add_u32 v22, v22, 2, 0
	ds_write2_b32 v22, v43, v46 offset1:8
	v_fma_f16 v43, v68, s3, v70
	v_fma_f16 v39, v42, s2, v39
	v_pack_b32_f16 v39, v43, v39
	ds_write_b32 v22, v39 offset:64
	v_lshrrev_b32_e32 v22, 16, v95
	v_add_f16_e32 v39, v22, v44
	v_sub_f16_e32 v42, v44, v45
	v_add_f16_e32 v43, v44, v45
	v_lshrrev_b32_e32 v44, 3, v11
	v_mul_lo_u32 v44, v44, 24
	v_add_f16_e32 v39, v39, v45
	v_fma_f16 v22, v43, -0.5, v22
	v_add_f16_e32 v43, v87, v88
	v_add_f16_e32 v45, v95, v87
	v_fma_f16 v43, v43, -0.5, v95
	v_add_f16_e32 v45, v45, v88
	v_sub_f16_e32 v46, v87, v88
	v_or_b32_e32 v44, v44, v77
	v_pack_b32_f16 v39, v45, v39
	v_fma_f16 v45, v42, s2, v43
	v_fma_f16 v68, v46, s3, v22
	v_pack_b32_f16 v45, v45, v68
	v_lshl_add_u32 v44, v44, 2, 0
	ds_write2_b32 v44, v39, v45 offset1:8
	v_fma_f16 v39, v42, s3, v43
	v_fma_f16 v22, v46, s2, v22
	v_pack_b32_f16 v22, v39, v22
	ds_write_b32 v44, v22 offset:64
	v_lshrrev_b32_e32 v44, 3, v13
	v_mul_lo_u32 v44, v44, 24
	v_lshrrev_b32_e32 v22, 16, v96
	v_add_f16_e32 v43, v90, v89
	v_add_f16_e32 v39, v22, v90
	v_fma_f16 v22, v43, -0.5, v22
	v_add_f16_e32 v43, v64, v40
	v_add_f16_e32 v45, v96, v64
	;; [unrolled: 1-line block ×3, first 2 shown]
	v_sub_f16_e32 v42, v90, v89
	v_fma_f16 v43, v43, -0.5, v96
	v_add_f16_e32 v45, v45, v40
	v_sub_f16_e32 v40, v64, v40
	v_or_b32_e32 v44, v44, v78
	v_pack_b32_f16 v39, v45, v39
	v_fma_f16 v45, v42, s2, v43
	v_fma_f16 v46, v40, s3, v22
	v_pack_b32_f16 v45, v45, v46
	v_lshl_add_u32 v44, v44, 2, 0
	ds_write2_b32 v44, v39, v45 offset1:8
	v_fma_f16 v39, v42, s3, v43
	v_fma_f16 v22, v40, s2, v22
	v_pack_b32_f16 v22, v39, v22
	ds_write_b32 v44, v22 offset:64
	v_lshrrev_b32_e32 v22, 16, v97
	v_lshrrev_b32_e32 v42, 3, v15
	v_add_f16_e32 v39, v22, v66
	v_mul_lo_u32 v42, v42, 24
	v_add_f16_e32 v39, v39, v41
	v_sub_f16_e32 v40, v66, v41
	v_add_f16_e32 v41, v66, v41
	v_fma_f16 v22, v41, -0.5, v22
	v_add_f16_e32 v41, v65, v92
	v_add_f16_e32 v43, v97, v65
	v_fma_f16 v41, v41, -0.5, v97
	v_add_f16_e32 v43, v43, v92
	v_sub_f16_e32 v44, v65, v92
	v_or_b32_e32 v37, v42, v37
	v_pack_b32_f16 v39, v43, v39
	v_fma_f16 v42, v40, s2, v41
	v_fma_f16 v43, v44, s3, v22
	v_pack_b32_f16 v42, v42, v43
	v_lshl_add_u32 v37, v37, 2, 0
	ds_write2_b32 v37, v39, v42 offset1:8
	v_fma_f16 v39, v40, s3, v41
	v_fma_f16 v22, v44, s2, v22
	v_pack_b32_f16 v22, v39, v22
	v_lshrrev_b32_e32 v40, 3, v17
	ds_write_b32 v37, v22 offset:64
	v_lshrrev_b32_e32 v22, 16, v67
	v_mul_lo_u32 v40, v40, 24
	v_add_f16_e32 v37, v22, v38
	v_sub_f16_e32 v39, v38, v69
	v_add_f16_e32 v38, v38, v69
	v_fma_f16 v22, v38, -0.5, v22
	v_add_f16_e32 v38, v91, v102
	v_add_f16_e32 v41, v67, v91
	;; [unrolled: 1-line block ×3, first 2 shown]
	v_fma_f16 v38, v38, -0.5, v67
	v_add_f16_e32 v41, v41, v102
	v_sub_f16_e32 v42, v91, v102
	v_or_b32_e32 v40, v40, v80
	v_pack_b32_f16 v37, v41, v37
	v_fma_f16 v41, v39, s2, v38
	v_fma_f16 v43, v42, s3, v22
	v_pack_b32_f16 v41, v41, v43
	v_lshl_add_u32 v40, v40, 2, 0
	ds_write2_b32 v40, v37, v41 offset1:8
	v_fma_f16 v37, v39, s3, v38
	v_fma_f16 v22, v42, s2, v22
	v_pack_b32_f16 v22, v37, v22
	ds_write_b32 v40, v22 offset:64
	v_mul_lo_u16_sdwa v22, v2, s0 dst_sel:DWORD dst_unused:UNUSED_PAD src0_sel:BYTE_0 src1_sel:DWORD
	v_lshrrev_b16_e32 v39, 12, v22
	v_mul_lo_u16_e32 v22, 24, v39
	v_sub_u16_e32 v40, v2, v22
	v_mov_b32_e32 v37, 3
	v_lshlrev_b32_sdwa v22, v37, v40 dst_sel:DWORD dst_unused:UNUSED_PAD src0_sel:DWORD src1_sel:BYTE_0
	s_waitcnt lgkmcnt(0)
	; wave barrier
	s_waitcnt lgkmcnt(0)
	global_load_dwordx2 v[70:71], v22, s[8:9] offset:88
	v_mul_lo_u16_sdwa v22, v20, s0 dst_sel:DWORD dst_unused:UNUSED_PAD src0_sel:BYTE_0 src1_sel:DWORD
	v_lshrrev_b16_e32 v43, 12, v22
	v_mul_lo_u16_e32 v22, 24, v43
	v_sub_u16_e32 v44, v20, v22
	v_lshlrev_b32_sdwa v22, v37, v44 dst_sel:DWORD dst_unused:UNUSED_PAD src0_sel:DWORD src1_sel:BYTE_0
	global_load_dwordx2 v[72:73], v22, s[8:9] offset:88
	v_mul_lo_u16_sdwa v22, v9, s0 dst_sel:DWORD dst_unused:UNUSED_PAD src0_sel:BYTE_0 src1_sel:DWORD
	v_lshrrev_b16_e32 v41, 12, v22
	v_mul_lo_u16_e32 v22, 24, v41
	v_sub_u16_e32 v42, v9, v22
	v_lshlrev_b32_sdwa v22, v37, v42 dst_sel:DWORD dst_unused:UNUSED_PAD src0_sel:DWORD src1_sel:BYTE_0
	global_load_dwordx2 v[74:75], v22, s[8:9] offset:88
	v_mul_u32_u24_sdwa v22, v11, s1 dst_sel:DWORD dst_unused:UNUSED_PAD src0_sel:WORD_0 src1_sel:DWORD
	v_lshrrev_b32_e32 v45, 20, v22
	v_mul_lo_u16_e32 v22, 24, v45
	v_sub_u16_e32 v46, v11, v22
	v_lshlrev_b32_e32 v22, 3, v46
	global_load_dwordx2 v[76:77], v22, s[8:9] offset:88
	v_mul_u32_u24_sdwa v22, v13, s1 dst_sel:DWORD dst_unused:UNUSED_PAD src0_sel:WORD_0 src1_sel:DWORD
	v_lshrrev_b32_e32 v66, 20, v22
	v_mul_lo_u16_e32 v22, 24, v66
	v_sub_u16_e32 v67, v13, v22
	v_lshlrev_b32_e32 v22, 3, v67
	;; [unrolled: 6-line block ×3, first 2 shown]
	global_load_dwordx2 v[80:81], v22, s[8:9] offset:88
	v_mul_lo_u16_sdwa v22, v0, s0 dst_sel:DWORD dst_unused:UNUSED_PAD src0_sel:BYTE_0 src1_sel:DWORD
	v_lshrrev_b16_e32 v90, 12, v22
	v_mul_lo_u16_e32 v22, 24, v90
	v_sub_u16_e32 v91, v0, v22
	v_lshlrev_b32_sdwa v22, v37, v91 dst_sel:DWORD dst_unused:UNUSED_PAD src0_sel:DWORD src1_sel:BYTE_0
	global_load_dwordx2 v[82:83], v22, s[8:9] offset:88
	v_mul_u32_u24_sdwa v22, v17, s1 dst_sel:DWORD dst_unused:UNUSED_PAD src0_sel:WORD_0 src1_sel:DWORD
	v_lshrrev_b32_e32 v68, 20, v22
	v_mul_lo_u16_e32 v22, 24, v68
	v_sub_u16_e32 v69, v17, v22
	v_lshlrev_b32_e32 v22, 3, v69
	global_load_dwordx2 v[86:87], v22, s[8:9] offset:88
	ds_read2_b32 v[84:85], v27 offset0:55 offset1:118
	ds_read2_b32 v[88:89], v29 offset0:47 offset1:110
	v_cmp_gt_u32_e64 s[0:1], 9, v0
	v_mul_u32_u24_e32 v39, 0x120, v39
	v_mul_u32_u24_e32 v43, 0x120, v43
	s_waitcnt lgkmcnt(1)
	v_lshrrev_b32_e32 v22, 16, v84
	v_mul_u32_u24_e32 v41, 0x120, v41
	v_mul_u32_u24_e32 v45, 0x120, v45
	v_lshlrev_b32_e32 v46, 2, v46
	v_add3_u32 v45, 0, v45, v46
	s_waitcnt vmcnt(7)
	v_mul_f16_sdwa v38, v70, v84 dst_sel:DWORD dst_unused:UNUSED_PAD src0_sel:WORD_1 src1_sel:DWORD
	v_fma_f16 v92, v70, v22, -v38
	v_mul_f16_sdwa v22, v70, v22 dst_sel:DWORD dst_unused:UNUSED_PAD src0_sel:WORD_1 src1_sel:DWORD
	v_fma_f16 v84, v70, v84, v22
	s_waitcnt lgkmcnt(0)
	v_lshrrev_b32_e32 v22, 16, v88
	v_mul_f16_sdwa v38, v88, v71 dst_sel:DWORD dst_unused:UNUSED_PAD src0_sel:DWORD src1_sel:WORD_1
	v_fma_f16 v93, v22, v71, -v38
	v_mul_f16_sdwa v22, v22, v71 dst_sel:DWORD dst_unused:UNUSED_PAD src0_sel:DWORD src1_sel:WORD_1
	v_fma_f16 v88, v88, v71, v22
	v_lshrrev_b32_e32 v22, 16, v85
	s_waitcnt vmcnt(6)
	v_mul_f16_sdwa v38, v22, v72 dst_sel:DWORD dst_unused:UNUSED_PAD src0_sel:DWORD src1_sel:WORD_1
	v_fma_f16 v94, v85, v72, v38
	v_mul_f16_sdwa v38, v85, v72 dst_sel:DWORD dst_unused:UNUSED_PAD src0_sel:DWORD src1_sel:WORD_1
	v_fma_f16 v85, v22, v72, -v38
	v_lshrrev_b32_e32 v22, 16, v89
	ds_read2_b32 v[70:71], v27 offset0:181 offset1:244
	v_mul_f16_sdwa v38, v22, v73 dst_sel:DWORD dst_unused:UNUSED_PAD src0_sel:DWORD src1_sel:WORD_1
	v_fma_f16 v95, v89, v73, v38
	v_mul_f16_sdwa v38, v89, v73 dst_sel:DWORD dst_unused:UNUSED_PAD src0_sel:DWORD src1_sel:WORD_1
	v_fma_f16 v89, v22, v73, -v38
	ds_read2_b32 v[72:73], v29 offset0:173 offset1:236
	s_waitcnt lgkmcnt(1)
	v_lshrrev_b32_e32 v22, 16, v70
	s_waitcnt vmcnt(5)
	v_mul_f16_sdwa v38, v70, v74 dst_sel:DWORD dst_unused:UNUSED_PAD src0_sel:DWORD src1_sel:WORD_1
	v_fma_f16 v96, v22, v74, -v38
	v_mul_f16_sdwa v22, v22, v74 dst_sel:DWORD dst_unused:UNUSED_PAD src0_sel:DWORD src1_sel:WORD_1
	v_fma_f16 v97, v70, v74, v22
	s_waitcnt lgkmcnt(0)
	v_lshrrev_b32_e32 v22, 16, v72
	v_mul_f16_sdwa v38, v72, v75 dst_sel:DWORD dst_unused:UNUSED_PAD src0_sel:DWORD src1_sel:WORD_1
	v_fma_f16 v98, v22, v75, -v38
	v_mul_f16_sdwa v22, v22, v75 dst_sel:DWORD dst_unused:UNUSED_PAD src0_sel:DWORD src1_sel:WORD_1
	v_fma_f16 v99, v72, v75, v22
	v_lshrrev_b32_e32 v22, 16, v71
	s_waitcnt vmcnt(4)
	v_mul_f16_sdwa v38, v22, v76 dst_sel:DWORD dst_unused:UNUSED_PAD src0_sel:DWORD src1_sel:WORD_1
	v_fma_f16 v100, v71, v76, v38
	v_mul_f16_sdwa v38, v71, v76 dst_sel:DWORD dst_unused:UNUSED_PAD src0_sel:DWORD src1_sel:WORD_1
	v_fma_f16 v101, v22, v76, -v38
	v_lshrrev_b32_e32 v22, 16, v73
	ds_read2_b32 v[71:72], v31 offset0:51 offset1:114
	v_mul_f16_sdwa v38, v22, v77 dst_sel:DWORD dst_unused:UNUSED_PAD src0_sel:DWORD src1_sel:WORD_1
	v_fma_f16 v102, v73, v77, v38
	v_mul_f16_sdwa v38, v73, v77 dst_sel:DWORD dst_unused:UNUSED_PAD src0_sel:DWORD src1_sel:WORD_1
	ds_read2_b32 v[73:74], v26 offset0:43 offset1:106
	v_fma_f16 v103, v22, v77, -v38
	s_waitcnt lgkmcnt(1)
	v_lshrrev_b32_e32 v22, 16, v71
	s_waitcnt vmcnt(3)
	v_mul_f16_sdwa v38, v71, v78 dst_sel:DWORD dst_unused:UNUSED_PAD src0_sel:DWORD src1_sel:WORD_1
	v_fma_f16 v104, v22, v78, -v38
	v_mul_f16_sdwa v22, v22, v78 dst_sel:DWORD dst_unused:UNUSED_PAD src0_sel:DWORD src1_sel:WORD_1
	v_fma_f16 v78, v71, v78, v22
	s_waitcnt lgkmcnt(0)
	v_lshrrev_b32_e32 v22, 16, v73
	v_mul_f16_sdwa v38, v73, v79 dst_sel:DWORD dst_unused:UNUSED_PAD src0_sel:DWORD src1_sel:WORD_1
	v_fma_f16 v105, v22, v79, -v38
	v_mul_f16_sdwa v22, v22, v79 dst_sel:DWORD dst_unused:UNUSED_PAD src0_sel:DWORD src1_sel:WORD_1
	v_fma_f16 v79, v73, v79, v22
	v_lshrrev_b32_e32 v22, 16, v72
	s_waitcnt vmcnt(2)
	v_mul_f16_sdwa v38, v22, v80 dst_sel:DWORD dst_unused:UNUSED_PAD src0_sel:DWORD src1_sel:WORD_1
	v_fma_f16 v71, v72, v80, v38
	v_mul_f16_sdwa v38, v72, v80 dst_sel:DWORD dst_unused:UNUSED_PAD src0_sel:DWORD src1_sel:WORD_1
	ds_read_b32 v76, v36
	ds_read_b32 v70, v35
	v_fma_f16 v73, v22, v80, -v38
	v_lshrrev_b32_e32 v22, 16, v74
	v_mul_f16_sdwa v38, v22, v81 dst_sel:DWORD dst_unused:UNUSED_PAD src0_sel:DWORD src1_sel:WORD_1
	v_fma_f16 v72, v74, v81, v38
	v_mul_f16_sdwa v38, v74, v81 dst_sel:DWORD dst_unused:UNUSED_PAD src0_sel:DWORD src1_sel:WORD_1
	ds_read2_b32 v[74:75], v31 offset0:177 offset1:240
	v_fma_f16 v80, v22, v81, -v38
	s_waitcnt lgkmcnt(2)
	v_lshrrev_b32_e32 v22, 16, v76
	s_waitcnt vmcnt(1)
	v_mul_f16_sdwa v38, v82, v22 dst_sel:DWORD dst_unused:UNUSED_PAD src0_sel:WORD_1 src1_sel:DWORD
	v_fma_f16 v81, v82, v76, v38
	v_mul_f16_sdwa v38, v82, v76 dst_sel:DWORD dst_unused:UNUSED_PAD src0_sel:WORD_1 src1_sel:DWORD
	v_fma_f16 v82, v82, v22, -v38
	s_waitcnt lgkmcnt(0)
	v_lshrrev_b32_e32 v22, 16, v75
	v_mul_f16_sdwa v38, v83, v75 dst_sel:DWORD dst_unused:UNUSED_PAD src0_sel:WORD_1 src1_sel:DWORD
	v_fma_f16 v106, v83, v22, -v38
	v_mul_f16_sdwa v22, v83, v22 dst_sel:DWORD dst_unused:UNUSED_PAD src0_sel:WORD_1 src1_sel:DWORD
	v_fma_f16 v83, v83, v75, v22
	v_lshrrev_b32_e32 v22, 16, v74
	s_waitcnt vmcnt(0)
	v_mul_f16_sdwa v38, v22, v86 dst_sel:DWORD dst_unused:UNUSED_PAD src0_sel:DWORD src1_sel:WORD_1
	v_fma_f16 v107, v74, v86, v38
	v_mul_f16_sdwa v38, v74, v86 dst_sel:DWORD dst_unused:UNUSED_PAD src0_sel:DWORD src1_sel:WORD_1
	v_fma_f16 v86, v22, v86, -v38
	ds_read_b32 v22, v47 offset:5796
	ds_read_b32 v108, v23
	ds_read_b32 v109, v24
	;; [unrolled: 1-line block ×6, first 2 shown]
	s_waitcnt lgkmcnt(6)
	v_lshrrev_b32_e32 v38, 16, v22
	v_mul_f16_sdwa v74, v38, v87 dst_sel:DWORD dst_unused:UNUSED_PAD src0_sel:DWORD src1_sel:WORD_1
	v_fma_f16 v114, v22, v87, v74
	v_mul_f16_sdwa v22, v22, v87 dst_sel:DWORD dst_unused:UNUSED_PAD src0_sel:DWORD src1_sel:WORD_1
	v_fma_f16 v87, v38, v87, -v22
	v_mov_b32_e32 v22, 0
	v_lshlrev_b64 v[74:75], 2, v[21:22]
	v_add_u32_e32 v21, -9, v0
	v_cndmask_b32_e64 v38, v21, v2, s[0:1]
	v_lshlrev_b32_e32 v21, 1, v38
	v_lshlrev_b64 v[76:77], 2, v[21:22]
	s_waitcnt lgkmcnt(0)
	v_lshrrev_b32_e32 v21, 16, v113
	v_add_f16_e32 v116, v21, v82
	v_sub_f16_e32 v117, v82, v106
	v_add_f16_e32 v82, v82, v106
	v_fma_f16 v82, v82, -0.5, v21
	v_add_f16_e32 v21, v81, v83
	v_add_f16_e32 v116, v116, v106
	v_fma_f16 v106, v21, -0.5, v113
	v_add_f16_e32 v21, v113, v81
	v_add_f16_e32 v113, v21, v83
	v_mov_b32_e32 v21, 2
	v_sub_f16_e32 v81, v81, v83
	v_mul_u32_u24_e32 v83, 0x120, v90
	v_lshlrev_b32_sdwa v90, v21, v91 dst_sel:DWORD dst_unused:UNUSED_PAD src0_sel:DWORD src1_sel:BYTE_0
	v_add3_u32 v83, 0, v83, v90
	v_pack_b32_f16 v90, v113, v116
	v_fma_f16 v91, v117, s2, v106
	v_fma_f16 v113, v81, s3, v82
	v_pack_b32_f16 v91, v91, v113
	ds_read_b32 v113, v63
	s_waitcnt lgkmcnt(0)
	; wave barrier
	s_waitcnt lgkmcnt(0)
	ds_write2_b32 v83, v90, v91 offset1:24
	v_fma_f16 v90, v117, s3, v106
	v_fma_f16 v81, v81, s2, v82
	v_pack_b32_f16 v81, v90, v81
	ds_write_b32 v83, v81 offset:192
	v_lshrrev_b32_e32 v81, 16, v112
	v_add_f16_e32 v90, v92, v93
	v_add_f16_e32 v82, v81, v92
	v_fma_f16 v81, v90, -0.5, v81
	v_add_f16_e32 v90, v84, v88
	v_add_f16_e32 v91, v112, v84
	v_add_f16_e32 v82, v82, v93
	v_sub_f16_e32 v83, v92, v93
	v_fma_f16 v90, v90, -0.5, v112
	v_add_f16_e32 v91, v91, v88
	v_sub_f16_e32 v84, v84, v88
	v_lshlrev_b32_sdwa v40, v21, v40 dst_sel:DWORD dst_unused:UNUSED_PAD src0_sel:DWORD src1_sel:BYTE_0
	v_add3_u32 v39, 0, v39, v40
	v_pack_b32_f16 v40, v91, v82
	v_fma_f16 v82, v83, s2, v90
	v_fma_f16 v88, v84, s3, v81
	v_pack_b32_f16 v82, v82, v88
	ds_write2_b32 v39, v40, v82 offset1:24
	v_fma_f16 v40, v83, s3, v90
	v_fma_f16 v81, v84, s2, v81
	v_pack_b32_f16 v40, v40, v81
	ds_write_b32 v39, v40 offset:192
	v_lshrrev_b32_e32 v39, 16, v113
	v_add_f16_e32 v82, v85, v89
	v_add_f16_e32 v40, v39, v85
	v_fma_f16 v39, v82, -0.5, v39
	v_add_f16_e32 v82, v94, v95
	v_add_f16_e32 v83, v113, v94
	v_add_f16_e32 v40, v40, v89
	v_sub_f16_e32 v81, v85, v89
	v_fma_f16 v82, v82, -0.5, v113
	v_add_f16_e32 v83, v83, v95
	v_sub_f16_e32 v84, v94, v95
	v_lshlrev_b32_sdwa v44, v21, v44 dst_sel:DWORD dst_unused:UNUSED_PAD src0_sel:DWORD src1_sel:BYTE_0
	v_add3_u32 v43, 0, v43, v44
	v_pack_b32_f16 v40, v83, v40
	v_fma_f16 v44, v81, s2, v82
	v_fma_f16 v83, v84, s3, v39
	v_pack_b32_f16 v44, v44, v83
	;; [unrolled: 22-line block ×3, first 2 shown]
	ds_write2_b32 v41, v40, v42 offset1:24
	v_fma_f16 v40, v43, s3, v44
	v_fma_f16 v39, v82, s2, v39
	v_pack_b32_f16 v39, v40, v39
	ds_write_b32 v41, v39 offset:192
	v_lshrrev_b32_e32 v39, 16, v109
	v_add_f16_e32 v42, v101, v103
	v_add_f16_e32 v40, v39, v101
	v_fma_f16 v39, v42, -0.5, v39
	v_add_f16_e32 v42, v100, v102
	v_add_f16_e32 v43, v109, v100
	;; [unrolled: 1-line block ×3, first 2 shown]
	v_sub_f16_e32 v41, v101, v103
	v_fma_f16 v42, v42, -0.5, v109
	v_add_f16_e32 v43, v43, v102
	v_sub_f16_e32 v44, v100, v102
	v_pack_b32_f16 v40, v43, v40
	v_fma_f16 v43, v41, s2, v42
	v_fma_f16 v46, v44, s3, v39
	v_pack_b32_f16 v43, v43, v46
	ds_write2_b32 v45, v40, v43 offset1:24
	v_fma_f16 v40, v41, s3, v42
	v_fma_f16 v39, v44, s2, v39
	v_pack_b32_f16 v39, v40, v39
	ds_write_b32 v45, v39 offset:192
	v_lshrrev_b32_e32 v39, 16, v110
	v_add_f16_e32 v42, v104, v105
	v_add_f16_e32 v40, v39, v104
	v_fma_f16 v39, v42, -0.5, v39
	v_add_f16_e32 v42, v78, v79
	v_add_f16_e32 v43, v110, v78
	v_add_f16_e32 v40, v40, v105
	v_sub_f16_e32 v41, v104, v105
	v_fma_f16 v42, v42, -0.5, v110
	v_add_f16_e32 v43, v43, v79
	v_sub_f16_e32 v44, v78, v79
	v_mul_u32_u24_e32 v45, 0x120, v66
	v_lshlrev_b32_e32 v46, 2, v67
	v_add3_u32 v45, 0, v45, v46
	v_pack_b32_f16 v40, v43, v40
	v_fma_f16 v43, v41, s2, v42
	v_fma_f16 v46, v44, s3, v39
	v_pack_b32_f16 v43, v43, v46
	ds_write2_b32 v45, v40, v43 offset1:24
	v_fma_f16 v40, v41, s3, v42
	v_fma_f16 v39, v44, s2, v39
	v_pack_b32_f16 v39, v40, v39
	ds_write_b32 v45, v39 offset:192
	v_lshrrev_b32_e32 v39, 16, v111
	v_add_f16_e32 v42, v73, v80
	v_add_f16_e32 v40, v39, v73
	v_fma_f16 v39, v42, -0.5, v39
	v_add_f16_e32 v42, v71, v72
	v_add_f16_e32 v43, v111, v71
	v_add_f16_e32 v40, v40, v80
	v_sub_f16_e32 v41, v73, v80
	v_fma_f16 v42, v42, -0.5, v111
	v_add_f16_e32 v43, v43, v72
	v_sub_f16_e32 v44, v71, v72
	v_mul_u32_u24_e32 v45, 0x120, v64
	v_lshlrev_b32_e32 v46, 2, v65
	v_add3_u32 v45, 0, v45, v46
	;; [unrolled: 23-line block ×3, first 2 shown]
	v_pack_b32_f16 v40, v43, v40
	v_fma_f16 v43, v41, s2, v42
	v_fma_f16 v46, v44, s3, v39
	v_pack_b32_f16 v43, v43, v46
	ds_write2_b32 v45, v40, v43 offset1:24
	v_fma_f16 v40, v41, s3, v42
	v_fma_f16 v39, v44, s2, v39
	v_add_co_u32_e64 v76, s[0:1], s8, v76
	v_pack_b32_f16 v39, v40, v39
	v_addc_co_u32_e64 v77, s[0:1], v115, v77, s[0:1]
	ds_write_b32 v45, v39 offset:192
	v_mov_b32_e32 v39, 57
	s_waitcnt lgkmcnt(0)
	; wave barrier
	s_waitcnt lgkmcnt(0)
	global_load_dwordx2 v[43:44], v[76:77], off offset:280
	v_mul_lo_u16_sdwa v40, v20, v39 dst_sel:DWORD dst_unused:UNUSED_PAD src0_sel:BYTE_0 src1_sel:DWORD
	v_lshrrev_b16_e32 v41, 12, v40
	v_mul_lo_u16_e32 v40, 0x48, v41
	v_sub_u16_e32 v42, v20, v40
	v_lshlrev_b32_sdwa v40, v37, v42 dst_sel:DWORD dst_unused:UNUSED_PAD src0_sel:DWORD src1_sel:BYTE_0
	global_load_dwordx2 v[45:46], v40, s[8:9] offset:280
	v_mul_u32_u24_sdwa v70, v15, s4 dst_sel:DWORD dst_unused:UNUSED_PAD src0_sel:WORD_0 src1_sel:DWORD
	v_lshrrev_b32_e32 v83, 22, v70
	v_mul_lo_u16_e32 v70, 0x48, v83
	v_mul_lo_u16_sdwa v39, v9, v39 dst_sel:DWORD dst_unused:UNUSED_PAD src0_sel:BYTE_0 src1_sel:DWORD
	v_mul_u32_u24_sdwa v68, v13, s4 dst_sel:DWORD dst_unused:UNUSED_PAD src0_sel:WORD_0 src1_sel:DWORD
	v_sub_u16_e32 v84, v15, v70
	v_lshrrev_b16_e32 v39, 12, v39
	v_lshrrev_b32_e32 v81, 22, v68
	v_lshlrev_b32_e32 v70, 3, v84
	global_load_dwordx2 v[70:71], v70, s[8:9] offset:280
	v_mul_lo_u16_e32 v40, 0x48, v39
	v_mul_lo_u16_e32 v68, 0x48, v81
	v_sub_u16_e32 v40, v9, v40
	v_sub_u16_e32 v82, v13, v68
	v_add_co_u32_e64 v72, s[0:1], s8, v74
	v_lshlrev_b32_sdwa v37, v37, v40 dst_sel:DWORD dst_unused:UNUSED_PAD src0_sel:DWORD src1_sel:BYTE_0
	v_lshlrev_b32_e32 v68, 3, v82
	v_addc_co_u32_e64 v73, s[0:1], v115, v75, s[0:1]
	global_load_dwordx2 v[64:65], v37, s[8:9] offset:280
	v_mul_u32_u24_sdwa v76, v17, s4 dst_sel:DWORD dst_unused:UNUSED_PAD src0_sel:WORD_0 src1_sel:DWORD
	global_load_dwordx2 v[68:69], v68, s[8:9] offset:280
	v_lshrrev_b32_e32 v76, 22, v76
	global_load_dwordx2 v[72:73], v[72:73], off offset:280
	v_mul_u32_u24_sdwa v37, v11, s4 dst_sel:DWORD dst_unused:UNUSED_PAD src0_sel:WORD_0 src1_sel:DWORD
	v_lshrrev_b32_e32 v37, 22, v37
	v_mul_lo_u16_e32 v66, 0x48, v37
	v_sub_u16_e32 v80, v11, v66
	v_lshlrev_b32_e32 v66, 3, v80
	global_load_dwordx2 v[66:67], v66, s[8:9] offset:280
	v_mul_lo_u16_e32 v76, 0x48, v76
	v_sub_u16_e32 v85, v17, v76
	v_lshlrev_b32_e32 v76, 3, v85
	global_load_dwordx2 v[76:77], v76, s[8:9] offset:280
	ds_read2_b32 v[74:75], v27 offset0:55 offset1:118
	ds_read2_b32 v[78:79], v29 offset0:47 offset1:110
	ds_read_b32 v96, v36
	v_cmp_lt_u32_e64 s[0:1], 8, v0
	v_lshlrev_b32_e32 v38, 2, v38
	s_waitcnt lgkmcnt(2)
	v_lshrrev_b32_e32 v86, 16, v74
	v_mul_u32_u24_e32 v41, 0x360, v41
	v_lshlrev_b32_sdwa v42, v21, v42 dst_sel:DWORD dst_unused:UNUSED_PAD src0_sel:DWORD src1_sel:BYTE_0
	v_add3_u32 v41, 0, v41, v42
	v_lshlrev_b32_sdwa v21, v21, v40 dst_sel:DWORD dst_unused:UNUSED_PAD src0_sel:DWORD src1_sel:BYTE_0
	v_mul_u32_u24_e32 v39, 0x360, v39
	v_add3_u32 v21, 0, v39, v21
	v_mul_u32_u24_e32 v37, 0x360, v37
	v_lshlrev_b32_e32 v40, 2, v80
	v_add3_u32 v37, 0, v37, v40
	s_waitcnt vmcnt(7)
	v_mul_f16_sdwa v87, v43, v74 dst_sel:DWORD dst_unused:UNUSED_PAD src0_sel:WORD_1 src1_sel:DWORD
	v_fma_f16 v87, v43, v86, -v87
	v_mul_f16_sdwa v86, v43, v86 dst_sel:DWORD dst_unused:UNUSED_PAD src0_sel:WORD_1 src1_sel:DWORD
	v_fma_f16 v74, v43, v74, v86
	s_waitcnt lgkmcnt(1)
	v_lshrrev_b32_e32 v43, 16, v78
	v_mul_f16_sdwa v86, v78, v44 dst_sel:DWORD dst_unused:UNUSED_PAD src0_sel:DWORD src1_sel:WORD_1
	v_fma_f16 v86, v43, v44, -v86
	v_mul_f16_sdwa v43, v43, v44 dst_sel:DWORD dst_unused:UNUSED_PAD src0_sel:DWORD src1_sel:WORD_1
	v_fma_f16 v78, v78, v44, v43
	v_lshrrev_b32_e32 v43, 16, v75
	s_waitcnt vmcnt(6)
	v_mul_f16_sdwa v44, v43, v45 dst_sel:DWORD dst_unused:UNUSED_PAD src0_sel:DWORD src1_sel:WORD_1
	v_fma_f16 v88, v75, v45, v44
	v_mul_f16_sdwa v44, v75, v45 dst_sel:DWORD dst_unused:UNUSED_PAD src0_sel:DWORD src1_sel:WORD_1
	v_fma_f16 v75, v43, v45, -v44
	v_lshrrev_b32_e32 v45, 16, v79
	ds_read2_b32 v[43:44], v27 offset0:181 offset1:244
	v_mul_f16_sdwa v89, v45, v46 dst_sel:DWORD dst_unused:UNUSED_PAD src0_sel:DWORD src1_sel:WORD_1
	v_fma_f16 v89, v79, v46, v89
	v_mul_f16_sdwa v79, v79, v46 dst_sel:DWORD dst_unused:UNUSED_PAD src0_sel:DWORD src1_sel:WORD_1
	v_fma_f16 v79, v45, v46, -v79
	ds_read2_b32 v[45:46], v29 offset0:173 offset1:236
	s_waitcnt lgkmcnt(1)
	v_lshrrev_b32_e32 v90, 16, v43
	s_waitcnt vmcnt(4)
	v_mul_f16_sdwa v91, v43, v64 dst_sel:DWORD dst_unused:UNUSED_PAD src0_sel:DWORD src1_sel:WORD_1
	v_fma_f16 v91, v90, v64, -v91
	v_mul_f16_sdwa v90, v90, v64 dst_sel:DWORD dst_unused:UNUSED_PAD src0_sel:DWORD src1_sel:WORD_1
	v_fma_f16 v64, v43, v64, v90
	s_waitcnt lgkmcnt(0)
	v_lshrrev_b32_e32 v43, 16, v45
	v_mul_f16_sdwa v90, v45, v65 dst_sel:DWORD dst_unused:UNUSED_PAD src0_sel:DWORD src1_sel:WORD_1
	v_fma_f16 v90, v43, v65, -v90
	v_mul_f16_sdwa v43, v43, v65 dst_sel:DWORD dst_unused:UNUSED_PAD src0_sel:DWORD src1_sel:WORD_1
	v_fma_f16 v65, v45, v65, v43
	v_lshrrev_b32_e32 v43, 16, v44
	s_waitcnt vmcnt(1)
	v_mul_f16_sdwa v45, v43, v66 dst_sel:DWORD dst_unused:UNUSED_PAD src0_sel:DWORD src1_sel:WORD_1
	v_fma_f16 v92, v44, v66, v45
	v_mul_f16_sdwa v44, v44, v66 dst_sel:DWORD dst_unused:UNUSED_PAD src0_sel:DWORD src1_sel:WORD_1
	v_lshrrev_b32_e32 v45, 16, v46
	v_fma_f16 v66, v43, v66, -v44
	ds_read2_b32 v[43:44], v31 offset0:51 offset1:114
	v_mul_f16_sdwa v93, v45, v67 dst_sel:DWORD dst_unused:UNUSED_PAD src0_sel:DWORD src1_sel:WORD_1
	v_fma_f16 v93, v46, v67, v93
	v_mul_f16_sdwa v46, v46, v67 dst_sel:DWORD dst_unused:UNUSED_PAD src0_sel:DWORD src1_sel:WORD_1
	v_fma_f16 v67, v45, v67, -v46
	ds_read2_b32 v[45:46], v26 offset0:43 offset1:106
	s_waitcnt lgkmcnt(1)
	v_lshrrev_b32_e32 v94, 16, v43
	v_mul_f16_sdwa v95, v43, v68 dst_sel:DWORD dst_unused:UNUSED_PAD src0_sel:DWORD src1_sel:WORD_1
	v_fma_f16 v95, v94, v68, -v95
	v_mul_f16_sdwa v94, v94, v68 dst_sel:DWORD dst_unused:UNUSED_PAD src0_sel:DWORD src1_sel:WORD_1
	v_fma_f16 v43, v43, v68, v94
	s_waitcnt lgkmcnt(0)
	v_lshrrev_b32_e32 v68, 16, v45
	v_mul_f16_sdwa v94, v45, v69 dst_sel:DWORD dst_unused:UNUSED_PAD src0_sel:DWORD src1_sel:WORD_1
	v_fma_f16 v94, v68, v69, -v94
	v_mul_f16_sdwa v68, v68, v69 dst_sel:DWORD dst_unused:UNUSED_PAD src0_sel:DWORD src1_sel:WORD_1
	v_fma_f16 v45, v45, v69, v68
	v_lshrrev_b32_e32 v68, 16, v44
	v_mul_f16_sdwa v69, v68, v70 dst_sel:DWORD dst_unused:UNUSED_PAD src0_sel:DWORD src1_sel:WORD_1
	v_fma_f16 v69, v44, v70, v69
	v_mul_f16_sdwa v44, v44, v70 dst_sel:DWORD dst_unused:UNUSED_PAD src0_sel:DWORD src1_sel:WORD_1
	v_fma_f16 v44, v68, v70, -v44
	v_lshrrev_b32_e32 v68, 16, v46
	v_mul_f16_sdwa v70, v68, v71 dst_sel:DWORD dst_unused:UNUSED_PAD src0_sel:DWORD src1_sel:WORD_1
	v_mul_f16_sdwa v36, v46, v71 dst_sel:DWORD dst_unused:UNUSED_PAD src0_sel:DWORD src1_sel:WORD_1
	v_fma_f16 v70, v46, v71, v70
	v_fma_f16 v46, v68, v71, -v36
	ds_read_b32 v68, v35
	ds_read2_b32 v[35:36], v31 offset0:177 offset1:240
	v_lshrrev_b32_e32 v71, 16, v96
	v_mul_f16_sdwa v97, v72, v71 dst_sel:DWORD dst_unused:UNUSED_PAD src0_sel:WORD_1 src1_sel:DWORD
	v_fma_f16 v97, v72, v96, v97
	v_mul_f16_sdwa v96, v72, v96 dst_sel:DWORD dst_unused:UNUSED_PAD src0_sel:WORD_1 src1_sel:DWORD
	v_fma_f16 v71, v72, v71, -v96
	s_waitcnt lgkmcnt(0)
	v_lshrrev_b32_e32 v72, 16, v36
	v_mul_f16_sdwa v96, v73, v36 dst_sel:DWORD dst_unused:UNUSED_PAD src0_sel:WORD_1 src1_sel:DWORD
	v_fma_f16 v96, v73, v72, -v96
	v_mul_f16_sdwa v72, v73, v72 dst_sel:DWORD dst_unused:UNUSED_PAD src0_sel:WORD_1 src1_sel:DWORD
	v_fma_f16 v36, v73, v36, v72
	v_lshrrev_b32_e32 v72, 16, v35
	s_waitcnt vmcnt(0)
	v_mul_f16_sdwa v73, v72, v76 dst_sel:DWORD dst_unused:UNUSED_PAD src0_sel:DWORD src1_sel:WORD_1
	v_fma_f16 v73, v35, v76, v73
	v_mul_f16_sdwa v35, v35, v76 dst_sel:DWORD dst_unused:UNUSED_PAD src0_sel:DWORD src1_sel:WORD_1
	v_fma_f16 v35, v72, v76, -v35
	ds_read_b32 v24, v24
	ds_read_b32 v32, v32
	;; [unrolled: 1-line block ×3, first 2 shown]
	ds_read_b32 v72, v47 offset:5796
	ds_read_b32 v23, v23
	ds_read_b32 v76, v63
	;; [unrolled: 1-line block ×4, first 2 shown]
	s_waitcnt lgkmcnt(4)
	v_lshrrev_b32_e32 v100, 16, v72
	v_mul_f16_sdwa v101, v100, v77 dst_sel:DWORD dst_unused:UNUSED_PAD src0_sel:DWORD src1_sel:WORD_1
	v_fma_f16 v101, v72, v77, v101
	v_mul_f16_sdwa v72, v72, v77 dst_sel:DWORD dst_unused:UNUSED_PAD src0_sel:DWORD src1_sel:WORD_1
	v_fma_f16 v72, v100, v77, -v72
	s_waitcnt lgkmcnt(0)
	v_lshrrev_b32_e32 v77, 16, v99
	v_add_f16_e32 v100, v77, v71
	v_sub_f16_e32 v102, v71, v96
	v_add_f16_e32 v71, v71, v96
	v_add_f16_e32 v100, v100, v96
	v_fma_f16 v71, v71, -0.5, v77
	v_add_f16_e32 v77, v97, v36
	v_add_f16_e32 v96, v99, v97
	v_fma_f16 v77, v77, -0.5, v99
	v_add_f16_e32 v96, v96, v36
	v_sub_f16_e32 v36, v97, v36
	v_fma_f16 v97, v102, s2, v77
	v_fma_f16 v99, v36, s3, v71
	v_pack_b32_f16 v96, v96, v100
	v_pack_b32_f16 v97, v97, v99
	v_fma_f16 v36, v36, s2, v71
	v_lshrrev_b32_e32 v71, 16, v98
	s_waitcnt lgkmcnt(0)
	; wave barrier
	ds_write2_b32 v47, v96, v97 offset1:72
	v_add_f16_e32 v96, v71, v87
	v_fma_f16 v77, v102, s3, v77
	v_add_f16_e32 v96, v96, v86
	v_sub_f16_e32 v97, v87, v86
	v_add_f16_e32 v86, v87, v86
	v_fma_f16 v71, v86, -0.5, v71
	v_add_f16_e32 v86, v74, v78
	v_pack_b32_f16 v36, v77, v36
	v_fma_f16 v86, v86, -0.5, v98
	v_add_f16_e32 v87, v98, v74
	v_sub_f16_e32 v74, v74, v78
	ds_write_b32 v47, v36 offset:576
	v_mov_b32_e32 v36, 0x360
	v_add_f16_e32 v87, v87, v78
	v_cndmask_b32_e64 v36, 0, v36, s[0:1]
	v_fma_f16 v77, v97, s2, v86
	v_fma_f16 v78, v74, s3, v71
	v_add3_u32 v36, 0, v36, v38
	v_pack_b32_f16 v38, v87, v96
	v_pack_b32_f16 v77, v77, v78
	ds_write2_b32 v36, v38, v77 offset1:72
	v_fma_f16 v38, v97, s3, v86
	v_fma_f16 v71, v74, s2, v71
	v_pack_b32_f16 v38, v38, v71
	ds_write_b32 v36, v38 offset:576
	v_lshrrev_b32_e32 v36, 16, v76
	v_add_f16_e32 v74, v75, v79
	v_add_f16_e32 v38, v36, v75
	v_sub_f16_e32 v71, v75, v79
	v_fma_f16 v36, v74, -0.5, v36
	v_add_f16_e32 v74, v88, v89
	v_add_f16_e32 v75, v76, v88
	;; [unrolled: 1-line block ×3, first 2 shown]
	v_fma_f16 v74, v74, -0.5, v76
	v_add_f16_e32 v75, v75, v89
	v_sub_f16_e32 v76, v88, v89
	v_pack_b32_f16 v38, v75, v38
	v_fma_f16 v42, v71, s2, v74
	v_fma_f16 v75, v76, s3, v36
	v_pack_b32_f16 v42, v42, v75
	ds_write2_b32 v41, v38, v42 offset1:72
	v_fma_f16 v38, v71, s3, v74
	v_fma_f16 v36, v76, s2, v36
	v_pack_b32_f16 v36, v38, v36
	ds_write_b32 v41, v36 offset:576
	v_lshrrev_b32_e32 v36, 16, v23
	v_add_f16_e32 v42, v91, v90
	v_add_f16_e32 v38, v36, v91
	v_fma_f16 v36, v42, -0.5, v36
	v_add_f16_e32 v42, v64, v65
	v_fma_f16 v42, v42, -0.5, v23
	v_add_f16_e32 v23, v23, v64
	v_add_f16_e32 v38, v38, v90
	v_sub_f16_e32 v41, v91, v90
	v_add_f16_e32 v23, v23, v65
	v_sub_f16_e32 v64, v64, v65
	v_pack_b32_f16 v23, v23, v38
	v_fma_f16 v38, v41, s2, v42
	v_fma_f16 v39, v64, s3, v36
	v_pack_b32_f16 v38, v38, v39
	ds_write2_b32 v21, v23, v38 offset1:72
	v_fma_f16 v23, v41, s3, v42
	v_fma_f16 v36, v64, s2, v36
	v_pack_b32_f16 v23, v23, v36
	ds_write_b32 v21, v23 offset:576
	v_lshrrev_b32_e32 v21, 16, v24
	v_add_f16_e32 v38, v66, v67
	v_add_f16_e32 v23, v21, v66
	v_fma_f16 v21, v38, -0.5, v21
	v_add_f16_e32 v38, v92, v93
	v_fma_f16 v38, v38, -0.5, v24
	v_add_f16_e32 v24, v24, v92
	v_add_f16_e32 v23, v23, v67
	v_sub_f16_e32 v36, v66, v67
	;; [unrolled: 20-line block ×3, first 2 shown]
	v_add_f16_e32 v32, v32, v45
	v_sub_f16_e32 v37, v43, v45
	v_mul_u32_u24_e32 v38, 0x360, v81
	v_lshlrev_b32_e32 v39, 2, v82
	v_add3_u32 v38, 0, v38, v39
	v_pack_b32_f16 v23, v32, v23
	v_fma_f16 v32, v24, s2, v36
	v_fma_f16 v39, v37, s3, v21
	v_pack_b32_f16 v32, v32, v39
	ds_write2_b32 v38, v23, v32 offset1:72
	v_fma_f16 v23, v24, s3, v36
	v_fma_f16 v21, v37, s2, v21
	v_pack_b32_f16 v21, v23, v21
	ds_write_b32 v38, v21 offset:576
	v_lshrrev_b32_e32 v21, 16, v34
	v_add_f16_e32 v32, v44, v46
	v_add_f16_e32 v23, v21, v44
	v_fma_f16 v21, v32, -0.5, v21
	v_add_f16_e32 v32, v69, v70
	v_fma_f16 v32, v32, -0.5, v34
	v_add_f16_e32 v34, v34, v69
	v_add_f16_e32 v23, v23, v46
	v_sub_f16_e32 v24, v44, v46
	v_add_f16_e32 v34, v34, v70
	v_sub_f16_e32 v36, v69, v70
	v_mul_u32_u24_e32 v37, 0x360, v83
	v_lshlrev_b32_e32 v38, 2, v84
	v_add3_u32 v37, 0, v37, v38
	v_pack_b32_f16 v23, v34, v23
	v_fma_f16 v34, v24, s2, v32
	v_fma_f16 v38, v36, s3, v21
	v_pack_b32_f16 v34, v34, v38
	ds_write2_b32 v37, v23, v34 offset1:72
	v_fma_f16 v23, v24, s3, v32
	v_fma_f16 v21, v36, s2, v21
	v_pack_b32_f16 v21, v23, v21
	ds_write_b32 v37, v21 offset:576
	v_lshrrev_b32_e32 v21, 16, v68
	v_add_f16_e32 v23, v21, v35
	v_add_f16_e32 v65, v23, v72
	;; [unrolled: 1-line block ×3, first 2 shown]
	v_fma_f16 v21, v23, -0.5, v21
	v_add_f16_e32 v23, v73, v101
	v_sub_f16_e32 v24, v35, v72
	v_fma_f16 v32, v23, -0.5, v68
	v_add_f16_e32 v23, v68, v73
	v_sub_f16_e32 v34, v73, v101
	v_add_f16_e32 v64, v23, v101
	v_lshl_add_u32 v35, v85, 2, 0
	v_fma_f16 v66, v34, s3, v21
	v_fma_f16 v23, v24, s2, v32
	v_fma_f16 v24, v24, s3, v32
	v_fma_f16 v67, v34, s2, v21
	v_pack_b32_f16 v36, v64, v65
	v_pack_b32_f16 v37, v23, v66
	v_add_u32_e32 v38, 0x1400, v35
	v_pack_b32_f16 v21, v24, v67
	ds_write2_b32 v38, v36, v37 offset0:16 offset1:88
	ds_write_b32 v35, v21 offset:5760
	s_waitcnt lgkmcnt(0)
	; wave barrier
	s_waitcnt lgkmcnt(0)
	ds_read2_b32 v[35:36], v27 offset0:46 offset1:136
	ds_read2_b32 v[43:44], v31 offset0:96 offset1:159
	;; [unrolled: 1-line block ×8, first 2 shown]
	ds_read_b32 v70, v63
	ds_read_b32 v71, v56
	ds_read_b32 v72, v47 offset:5688
	ds_read2_b32 v[29:30], v47 offset1:216
	v_sub_u32_e32 v21, 0, v62
	v_add_u32_e32 v60, v60, v21
	v_sub_u32_e32 v69, 0, v61
	v_cmp_gt_u32_e64 s[0:1], 27, v0
                                        ; implicit-def: $vgpr61
                                        ; implicit-def: $vgpr68
                                        ; implicit-def: $vgpr62
                                        ; implicit-def: $vgpr63
                                        ; implicit-def: $vgpr26
                                        ; implicit-def: $vgpr28
	s_and_saveexec_b64 s[2:3], s[0:1]
	s_cbranch_execz .LBB0_15
; %bb.14:
	v_add_u32_e32 v21, 0xd00, v47
	v_add_u32_e32 v27, 0x1380, v47
	ds_read_b32 v64, v60
	ds_read2_b32 v[23:24], v25 offset0:21 offset1:237
	ds_read2_b32 v[25:26], v21 offset0:5 offset1:221
	;; [unrolled: 1-line block ×3, first 2 shown]
	s_waitcnt lgkmcnt(3)
	v_lshrrev_b32_e32 v65, 16, v64
	s_waitcnt lgkmcnt(2)
	v_lshrrev_b32_e32 v66, 16, v23
	v_lshrrev_b32_e32 v67, 16, v24
	s_waitcnt lgkmcnt(1)
	v_lshrrev_b32_e32 v63, 16, v25
	;; [unrolled: 3-line block ×3, first 2 shown]
	v_lshrrev_b32_e32 v68, 16, v28
.LBB0_15:
	s_or_b64 exec, exec, s[2:3]
	v_mul_u32_u24_e32 v21, 6, v0
	v_lshlrev_b32_e32 v21, 2, v21
	global_load_dwordx4 v[73:76], v21, s[8:9] offset:856
	global_load_dwordx2 v[85:86], v21, s[8:9] offset:872
	v_mul_i32_i24_e32 v21, 6, v2
	v_lshlrev_b64 v[77:78], 2, v[21:22]
	v_mul_i32_i24_e32 v21, 6, v20
	v_mov_b32_e32 v83, s9
	v_add_co_u32_e64 v81, s[2:3], s8, v77
	v_lshlrev_b64 v[21:22], 2, v[21:22]
	v_addc_co_u32_e64 v82, s[2:3], v83, v78, s[2:3]
	v_add_co_u32_e64 v21, s[2:3], s8, v21
	v_addc_co_u32_e64 v22, s[2:3], v83, v22, s[2:3]
	global_load_dwordx4 v[77:80], v[81:82], off offset:856
	global_load_dwordx2 v[87:88], v[81:82], off offset:872
	s_waitcnt lgkmcnt(7)
	v_lshrrev_b32_e32 v105, 16, v45
	global_load_dwordx4 v[81:84], v[21:22], off offset:856
	s_waitcnt lgkmcnt(0)
	v_lshrrev_b32_e32 v106, 16, v30
	global_load_dwordx2 v[21:22], v[21:22], off offset:872
	v_lshrrev_b32_e32 v89, 16, v37
	v_lshrrev_b32_e32 v93, 16, v40
	;; [unrolled: 1-line block ×16, first 2 shown]
	s_movk_i32 s6, 0x2b26
	s_mov_b32 s4, 0xbb00
	s_mov_b32 s7, 0xbcab
	s_movk_i32 s5, 0x39e0
	s_mov_b32 s14, 0xb9e0
	s_mov_b32 s15, 0xb574
	s_movk_i32 s10, 0x3574
	s_mov_b32 s11, 0xb70e
	s_waitcnt lgkmcnt(0)
	; wave barrier
	s_waitcnt vmcnt(5)
	v_mul_f16_sdwa v107, v73, v106 dst_sel:DWORD dst_unused:UNUSED_PAD src0_sel:WORD_1 src1_sel:DWORD
	v_mul_f16_sdwa v108, v73, v30 dst_sel:DWORD dst_unused:UNUSED_PAD src0_sel:WORD_1 src1_sel:DWORD
	;; [unrolled: 1-line block ×4, first 2 shown]
	v_fma_f16 v30, v73, v30, v107
	v_fma_f16 v73, v73, v106, -v108
	v_fma_f16 v45, v74, v45, v109
	v_fma_f16 v74, v74, v105, -v110
	s_waitcnt vmcnt(4)
	v_mul_f16_sdwa v115, v85, v102 dst_sel:DWORD dst_unused:UNUSED_PAD src0_sel:WORD_1 src1_sel:DWORD
	v_mul_f16_sdwa v116, v85, v32 dst_sel:DWORD dst_unused:UNUSED_PAD src0_sel:WORD_1 src1_sel:DWORD
	;; [unrolled: 1-line block ×6, first 2 shown]
	s_waitcnt vmcnt(3)
	v_mul_f16_sdwa v105, v89, v79 dst_sel:DWORD dst_unused:UNUSED_PAD src0_sel:DWORD src1_sel:WORD_1
	v_mul_f16_sdwa v106, v37, v79 dst_sel:DWORD dst_unused:UNUSED_PAD src0_sel:DWORD src1_sel:WORD_1
	v_fma_f16 v37, v37, v79, v105
	v_fma_f16 v79, v89, v79, -v106
	s_waitcnt vmcnt(1)
	v_mul_f16_sdwa v89, v93, v81 dst_sel:DWORD dst_unused:UNUSED_PAD src0_sel:DWORD src1_sel:WORD_1
	v_fma_f16 v89, v40, v81, v89
	v_mul_f16_sdwa v40, v40, v81 dst_sel:DWORD dst_unused:UNUSED_PAD src0_sel:DWORD src1_sel:WORD_1
	v_fma_f16 v40, v93, v81, -v40
	v_mul_f16_sdwa v81, v94, v82 dst_sel:DWORD dst_unused:UNUSED_PAD src0_sel:DWORD src1_sel:WORD_1
	v_fma_f16 v81, v35, v82, v81
	v_mul_f16_sdwa v35, v35, v82 dst_sel:DWORD dst_unused:UNUSED_PAD src0_sel:DWORD src1_sel:WORD_1
	v_fma_f16 v35, v94, v82, -v35
	;; [unrolled: 4-line block ×4, first 2 shown]
	s_waitcnt vmcnt(0)
	v_mul_f16_sdwa v84, v97, v21 dst_sel:DWORD dst_unused:UNUSED_PAD src0_sel:DWORD src1_sel:WORD_1
	v_fma_f16 v84, v34, v21, v84
	v_mul_f16_sdwa v34, v34, v21 dst_sel:DWORD dst_unused:UNUSED_PAD src0_sel:DWORD src1_sel:WORD_1
	v_fma_f16 v21, v97, v21, -v34
	v_mul_f16_sdwa v34, v98, v22 dst_sel:DWORD dst_unused:UNUSED_PAD src0_sel:DWORD src1_sel:WORD_1
	v_mul_f16_sdwa v113, v76, v103 dst_sel:DWORD dst_unused:UNUSED_PAD src0_sel:WORD_1 src1_sel:DWORD
	v_mul_f16_sdwa v114, v76, v43 dst_sel:DWORD dst_unused:UNUSED_PAD src0_sel:WORD_1 src1_sel:DWORD
	v_fma_f16 v32, v85, v32, v115
	v_fma_f16 v85, v85, v102, -v116
	v_fma_f16 v41, v86, v41, v117
	v_fma_f16 v86, v86, v101, -v118
	v_mul_f16_sdwa v107, v90, v80 dst_sel:DWORD dst_unused:UNUSED_PAD src0_sel:DWORD src1_sel:WORD_1
	v_mul_f16_sdwa v108, v44, v80 dst_sel:DWORD dst_unused:UNUSED_PAD src0_sel:DWORD src1_sel:WORD_1
	v_fma_f16 v34, v72, v22, v34
	v_mul_f16_sdwa v72, v72, v22 dst_sel:DWORD dst_unused:UNUSED_PAD src0_sel:DWORD src1_sel:WORD_1
	v_fma_f16 v36, v75, v36, v111
	v_fma_f16 v75, v75, v104, -v112
	v_fma_f16 v43, v76, v43, v113
	v_fma_f16 v76, v76, v103, -v114
	;; [unrolled: 2-line block ×3, first 2 shown]
	v_fma_f16 v22, v98, v22, -v72
	v_add_f16_e32 v72, v30, v41
	v_add_f16_e32 v90, v73, v86
	v_sub_f16_e32 v30, v30, v41
	v_sub_f16_e32 v41, v73, v86
	v_add_f16_e32 v73, v45, v32
	v_add_f16_e32 v86, v74, v85
	v_mul_f16_sdwa v109, v91, v87 dst_sel:DWORD dst_unused:UNUSED_PAD src0_sel:DWORD src1_sel:WORD_1
	v_mul_f16_sdwa v110, v33, v87 dst_sel:DWORD dst_unused:UNUSED_PAD src0_sel:DWORD src1_sel:WORD_1
	v_mul_f16_sdwa v111, v92, v88 dst_sel:DWORD dst_unused:UNUSED_PAD src0_sel:DWORD src1_sel:WORD_1
	v_mul_f16_sdwa v112, v42, v88 dst_sel:DWORD dst_unused:UNUSED_PAD src0_sel:DWORD src1_sel:WORD_1
	v_sub_f16_e32 v32, v45, v32
	v_sub_f16_e32 v45, v74, v85
	v_add_f16_e32 v74, v36, v43
	v_add_f16_e32 v85, v75, v76
	v_sub_f16_e32 v36, v43, v36
	v_sub_f16_e32 v43, v76, v75
	v_add_f16_e32 v75, v73, v72
	v_add_f16_e32 v76, v86, v90
	v_fma_f16 v33, v33, v87, v109
	v_fma_f16 v87, v91, v87, -v110
	v_fma_f16 v42, v42, v88, v111
	v_fma_f16 v88, v92, v88, -v112
	v_sub_f16_e32 v91, v73, v72
	v_sub_f16_e32 v92, v86, v90
	;; [unrolled: 1-line block ×6, first 2 shown]
	v_add_f16_e32 v93, v36, v32
	v_add_f16_e32 v94, v43, v45
	v_sub_f16_e32 v95, v36, v32
	v_sub_f16_e32 v96, v43, v45
	;; [unrolled: 1-line block ×4, first 2 shown]
	v_add_f16_e32 v74, v74, v75
	v_add_f16_e32 v75, v85, v76
	v_sub_f16_e32 v36, v30, v36
	v_sub_f16_e32 v43, v41, v43
	v_add_f16_e32 v30, v93, v30
	v_add_f16_e32 v41, v94, v41
	;; [unrolled: 1-line block ×3, first 2 shown]
	v_add_f16_sdwa v29, v29, v75 dst_sel:DWORD dst_unused:UNUSED_PAD src0_sel:WORD_1 src1_sel:DWORD
	v_mul_f16_e32 v72, 0x3a52, v72
	v_mul_f16_e32 v85, 0x3a52, v90
	;; [unrolled: 1-line block ×8, first 2 shown]
	v_mul_f16_sdwa v101, v77, v100 dst_sel:DWORD dst_unused:UNUSED_PAD src0_sel:WORD_1 src1_sel:DWORD
	v_mul_f16_sdwa v102, v77, v39 dst_sel:DWORD dst_unused:UNUSED_PAD src0_sel:WORD_1 src1_sel:DWORD
	;; [unrolled: 1-line block ×4, first 2 shown]
	v_fma_f16 v74, v74, s7, v76
	v_fma_f16 v75, v75, s7, v29
	;; [unrolled: 1-line block ×4, first 2 shown]
	v_fma_f16 v90, v91, s5, -v90
	v_fma_f16 v93, v92, s5, -v93
	;; [unrolled: 1-line block ×4, first 2 shown]
	v_fma_f16 v91, v36, s15, v94
	v_fma_f16 v92, v43, s15, v95
	v_fma_f16 v32, v32, s4, -v94
	v_fma_f16 v36, v36, s10, -v96
	;; [unrolled: 1-line block ×3, first 2 shown]
	v_fma_f16 v39, v77, v39, v101
	v_fma_f16 v77, v77, v100, -v102
	v_fma_f16 v46, v78, v46, v103
	v_fma_f16 v78, v78, v99, -v104
	v_fma_f16 v45, v45, s4, -v95
	v_add_f16_e32 v73, v73, v74
	v_add_f16_e32 v86, v86, v75
	;; [unrolled: 1-line block ×6, first 2 shown]
	v_fma_f16 v75, v30, s11, v91
	v_fma_f16 v85, v41, s11, v92
	;; [unrolled: 1-line block ×6, first 2 shown]
	v_add_f16_e32 v41, v85, v73
	v_sub_f16_e32 v43, v86, v75
	v_add_f16_e32 v91, v36, v72
	v_sub_f16_e32 v92, v74, v30
	v_sub_f16_e32 v36, v72, v36
	v_add_f16_e32 v30, v30, v74
	v_sub_f16_e32 v72, v73, v85
	v_add_f16_e32 v73, v75, v86
	v_add_f16_e32 v74, v39, v42
	;; [unrolled: 1-line block ×3, first 2 shown]
	v_sub_f16_e32 v39, v39, v42
	v_sub_f16_e32 v42, v77, v88
	v_add_f16_e32 v77, v46, v33
	v_add_f16_e32 v85, v78, v87
	v_sub_f16_e32 v33, v46, v33
	v_sub_f16_e32 v46, v78, v87
	v_add_f16_e32 v78, v37, v44
	v_add_f16_e32 v86, v79, v80
	;; [unrolled: 4-line block ×3, first 2 shown]
	v_sub_f16_e32 v94, v90, v45
	v_add_f16_e32 v95, v32, v93
	v_add_f16_e32 v45, v45, v90
	v_sub_f16_e32 v32, v93, v32
	v_sub_f16_e32 v87, v77, v74
	;; [unrolled: 1-line block ×7, first 2 shown]
	v_add_f16_e32 v90, v37, v33
	v_add_f16_e32 v93, v44, v46
	v_sub_f16_e32 v96, v37, v33
	v_sub_f16_e32 v97, v44, v46
	;; [unrolled: 1-line block ×4, first 2 shown]
	v_add_f16_e32 v78, v78, v79
	v_add_f16_e32 v79, v86, v80
	v_sub_f16_e32 v37, v39, v37
	v_sub_f16_e32 v44, v42, v44
	v_add_f16_e32 v39, v90, v39
	v_add_f16_e32 v42, v93, v42
	;; [unrolled: 1-line block ×3, first 2 shown]
	v_add_f16_sdwa v71, v71, v79 dst_sel:DWORD dst_unused:UNUSED_PAD src0_sel:WORD_1 src1_sel:DWORD
	v_mul_f16_e32 v74, 0x3a52, v74
	v_mul_f16_e32 v75, 0x3a52, v75
	;; [unrolled: 1-line block ×8, first 2 shown]
	v_fma_f16 v78, v78, s7, v80
	v_fma_f16 v79, v79, s7, v71
	;; [unrolled: 1-line block ×4, first 2 shown]
	v_fma_f16 v86, v87, s5, -v86
	v_fma_f16 v90, v88, s5, -v90
	;; [unrolled: 1-line block ×4, first 2 shown]
	v_fma_f16 v87, v37, s15, v93
	v_fma_f16 v88, v44, s15, v96
	v_fma_f16 v33, v33, s4, -v93
	v_fma_f16 v37, v37, s10, -v97
	;; [unrolled: 1-line block ×4, first 2 shown]
	v_add_f16_e32 v77, v77, v78
	v_add_f16_e32 v85, v85, v79
	v_add_f16_e32 v86, v86, v78
	v_add_f16_e32 v90, v90, v79
	v_add_f16_e32 v74, v74, v78
	v_add_f16_e32 v75, v75, v79
	v_fma_f16 v78, v39, s11, v87
	v_fma_f16 v79, v42, s11, v88
	;; [unrolled: 1-line block ×6, first 2 shown]
	v_add_f16_e32 v42, v79, v77
	v_sub_f16_e32 v44, v85, v78
	v_add_f16_e32 v87, v39, v74
	v_sub_f16_e32 v88, v75, v37
	v_sub_f16_e32 v39, v74, v39
	v_add_f16_e32 v37, v37, v75
	v_sub_f16_e32 v74, v77, v79
	v_add_f16_e32 v75, v78, v85
	v_add_f16_e32 v77, v89, v34
	;; [unrolled: 1-line block ×3, first 2 shown]
	v_sub_f16_e32 v22, v40, v22
	v_add_f16_e32 v40, v81, v84
	v_add_f16_e32 v79, v35, v21
	v_sub_f16_e32 v81, v81, v84
	v_sub_f16_e32 v21, v35, v21
	v_add_f16_e32 v35, v82, v83
	v_add_f16_e32 v84, v38, v31
	v_sub_f16_e32 v82, v83, v82
	;; [unrolled: 4-line block ×3, first 2 shown]
	v_add_f16_e32 v96, v33, v90
	v_add_f16_e32 v46, v46, v86
	v_sub_f16_e32 v33, v90, v33
	v_sub_f16_e32 v34, v89, v34
	;; [unrolled: 1-line block ×8, first 2 shown]
	v_add_f16_e32 v89, v82, v81
	v_add_f16_e32 v90, v31, v21
	v_sub_f16_e32 v97, v82, v81
	v_sub_f16_e32 v98, v31, v21
	;; [unrolled: 1-line block ×3, first 2 shown]
	v_add_f16_e32 v35, v35, v38
	v_add_f16_e32 v38, v84, v83
	v_sub_f16_e32 v82, v34, v82
	v_sub_f16_e32 v31, v22, v31
	;; [unrolled: 1-line block ×3, first 2 shown]
	v_add_f16_e32 v34, v89, v34
	v_add_f16_e32 v22, v90, v22
	;; [unrolled: 1-line block ×3, first 2 shown]
	v_add_f16_sdwa v70, v70, v38 dst_sel:DWORD dst_unused:UNUSED_PAD src0_sel:WORD_1 src1_sel:DWORD
	v_mul_f16_e32 v77, 0x3a52, v77
	v_mul_f16_e32 v78, 0x3a52, v78
	;; [unrolled: 1-line block ×7, first 2 shown]
	v_fma_f16 v35, v35, s7, v83
	v_fma_f16 v38, v38, s7, v70
	;; [unrolled: 1-line block ×4, first 2 shown]
	v_fma_f16 v84, v85, s5, -v84
	v_fma_f16 v89, v86, s5, -v89
	;; [unrolled: 1-line block ×4, first 2 shown]
	v_fma_f16 v86, v31, s15, v97
	v_fma_f16 v21, v21, s4, -v97
	v_fma_f16 v31, v31, s10, -v99
	v_fma_f16 v85, v82, s15, v90
	v_add_f16_e32 v40, v40, v35
	v_add_f16_e32 v79, v79, v38
	;; [unrolled: 1-line block ×6, first 2 shown]
	v_fma_f16 v78, v22, s11, v86
	v_fma_f16 v21, v22, s11, v21
	;; [unrolled: 1-line block ×4, first 2 shown]
	v_add_f16_e32 v31, v78, v40
	v_add_f16_e32 v85, v22, v35
	v_sub_f16_e32 v22, v35, v22
	v_sub_f16_e32 v35, v40, v78
	v_pack_b32_f16 v29, v76, v29
	v_pack_b32_f16 v40, v41, v43
	ds_write2_b32 v47, v29, v40 offset1:216
	v_pack_b32_f16 v29, v91, v92
	v_pack_b32_f16 v40, v94, v95
	v_add_u32_e32 v41, 0x680, v47
	ds_write2_b32 v41, v29, v40 offset0:16 offset1:232
	v_pack_b32_f16 v29, v45, v32
	v_pack_b32_f16 v30, v36, v30
	v_add_u32_e32 v32, 0xd00, v47
	ds_write2_b32 v32, v29, v30 offset0:32 offset1:248
	v_pack_b32_f16 v29, v72, v73
	ds_write_b32 v47, v29 offset:5184
	v_pack_b32_f16 v29, v80, v71
	v_pack_b32_f16 v30, v42, v44
	v_mul_f16_e32 v98, 0xbb00, v81
	ds_write2_b32 v56, v29, v30 offset1:216
	v_pack_b32_f16 v29, v87, v88
	v_pack_b32_f16 v30, v93, v96
	v_add_u32_e32 v32, 0x680, v56
	v_fma_f16 v81, v81, s4, -v90
	v_fma_f16 v82, v82, s10, -v98
	ds_write2_b32 v32, v29, v30 offset0:16 offset1:232
	v_pack_b32_f16 v29, v46, v33
	v_pack_b32_f16 v30, v39, v37
	v_add_u32_e32 v32, 0xd00, v56
	v_fma_f16 v81, v34, s11, v81
	v_fma_f16 v34, v34, s11, v82
	v_sub_f16_e32 v82, v79, v77
	ds_write2_b32 v32, v29, v30 offset0:32 offset1:248
	v_pack_b32_f16 v29, v74, v75
	v_sub_f16_e32 v86, v38, v34
	v_sub_f16_e32 v90, v84, v21
	v_add_f16_e32 v97, v81, v89
	ds_write_b32 v56, v29 offset:5184
	v_add_u32_e32 v29, v3, v69
	v_pack_b32_f16 v3, v83, v70
	v_pack_b32_f16 v30, v31, v82
	v_add_f16_e32 v21, v21, v84
	v_sub_f16_e32 v81, v89, v81
	v_add_f16_e32 v34, v34, v38
	ds_write2_b32 v29, v3, v30 offset1:216
	v_pack_b32_f16 v3, v85, v86
	v_pack_b32_f16 v30, v90, v97
	v_add_u32_e32 v31, 0x680, v29
	v_add_f16_e32 v38, v77, v79
	ds_write2_b32 v31, v3, v30 offset0:16 offset1:232
	v_pack_b32_f16 v3, v21, v81
	v_pack_b32_f16 v21, v22, v34
	v_add_u32_e32 v22, 0xd00, v29
	ds_write2_b32 v22, v3, v21 offset0:32 offset1:248
	v_pack_b32_f16 v3, v35, v38
	ds_write_b32 v29, v3 offset:5184
	s_and_saveexec_b64 s[2:3], s[0:1]
	s_cbranch_execz .LBB0_17
; %bb.16:
	v_subrev_u32_e32 v3, 27, v0
	v_cndmask_b32_e64 v3, v3, v9, s[0:1]
	v_mul_i32_i24_e32 v21, 6, v3
	v_mov_b32_e32 v22, 0
	v_lshlrev_b64 v[21:22], 2, v[21:22]
	v_mov_b32_e32 v3, s9
	v_add_co_u32_e64 v21, s[0:1], s8, v21
	v_addc_co_u32_e64 v22, s[0:1], v3, v22, s[0:1]
	global_load_dwordx4 v[30:33], v[21:22], off offset:856
	global_load_dwordx2 v[34:35], v[21:22], off offset:872
	s_waitcnt vmcnt(1)
	v_mul_f16_sdwa v3, v66, v30 dst_sel:DWORD dst_unused:UNUSED_PAD src0_sel:DWORD src1_sel:WORD_1
	s_waitcnt vmcnt(0)
	v_mul_f16_sdwa v21, v68, v35 dst_sel:DWORD dst_unused:UNUSED_PAD src0_sel:DWORD src1_sel:WORD_1
	v_mul_f16_sdwa v22, v61, v33 dst_sel:DWORD dst_unused:UNUSED_PAD src0_sel:DWORD src1_sel:WORD_1
	;; [unrolled: 1-line block ×11, first 2 shown]
	v_fma_f16 v3, v23, v30, v3
	v_fma_f16 v21, v28, v35, v21
	;; [unrolled: 1-line block ×6, first 2 shown]
	v_fma_f16 v26, v68, v35, -v39
	v_fma_f16 v27, v66, v30, -v40
	;; [unrolled: 1-line block ×6, first 2 shown]
	v_sub_f16_e32 v33, v3, v21
	v_sub_f16_e32 v34, v22, v23
	;; [unrolled: 1-line block ×3, first 2 shown]
	v_add_f16_e32 v36, v27, v26
	v_add_f16_e32 v38, v31, v32
	;; [unrolled: 1-line block ×5, first 2 shown]
	v_sub_f16_e32 v23, v27, v26
	v_sub_f16_e32 v24, v30, v28
	;; [unrolled: 1-line block ×3, first 2 shown]
	v_add_f16_e32 v37, v28, v30
	v_add_f16_e32 v32, v38, v36
	;; [unrolled: 1-line block ×3, first 2 shown]
	v_sub_f16_e32 v41, v23, v24
	v_sub_f16_e32 v42, v24, v25
	v_add_f16_e32 v24, v24, v25
	v_sub_f16_e32 v26, v33, v34
	v_sub_f16_e32 v27, v34, v35
	v_add_f16_e32 v28, v34, v35
	v_sub_f16_e32 v30, v36, v37
	v_sub_f16_e32 v31, v37, v38
	;; [unrolled: 1-line block ×5, first 2 shown]
	v_add_f16_e32 v32, v37, v32
	v_add_f16_e32 v21, v21, v40
	;; [unrolled: 1-line block ×3, first 2 shown]
	v_sub_f16_e32 v23, v25, v23
	v_sub_f16_e32 v36, v38, v36
	;; [unrolled: 1-line block ×3, first 2 shown]
	v_mul_f16_e32 v22, 0x3846, v27
	v_add_f16_e32 v27, v28, v33
	v_mul_f16_e32 v28, 0x3a52, v30
	v_mul_f16_e32 v30, 0x2b26, v31
	;; [unrolled: 1-line block ×6, first 2 shown]
	v_add_f16_e32 v42, v65, v32
	v_add_f16_e32 v43, v64, v21
	v_mul_f16_e32 v25, 0xbb00, v23
	v_fma_f16 v40, v26, s15, v22
	v_fma_f16 v31, v31, s6, v28
	;; [unrolled: 1-line block ×3, first 2 shown]
	v_fma_f16 v26, v26, s10, -v38
	v_fma_f16 v28, v36, s14, -v28
	v_fma_f16 v33, v3, s14, -v33
	v_fma_f16 v32, v32, s7, v42
	v_fma_f16 v21, v21, s7, v43
	v_fma_f16 v25, v41, s10, -v25
	v_fma_f16 v30, v36, s5, -v30
	;; [unrolled: 1-line block ×5, first 2 shown]
	v_fma_f16 v44, v41, s15, v37
	v_fma_f16 v26, v27, s11, v26
	v_add_f16_e32 v28, v28, v32
	v_add_f16_e32 v33, v33, v21
	v_fma_f16 v25, v24, s11, v25
	v_add_f16_e32 v30, v30, v32
	v_fma_f16 v22, v27, s11, v22
	v_fma_f16 v23, v24, s11, v23
	v_add_f16_e32 v3, v3, v21
	v_fma_f16 v38, v27, s11, v40
	v_fma_f16 v40, v24, s11, v44
	v_add_f16_e32 v39, v39, v21
	v_sub_f16_e32 v27, v30, v22
	v_add_f16_e32 v21, v23, v3
	v_add_f16_e32 v22, v22, v30
	v_sub_f16_e32 v3, v3, v23
	v_sub_f16_e32 v23, v28, v26
	v_add_f16_e32 v24, v25, v33
	v_add_f16_e32 v31, v31, v32
	;; [unrolled: 1-line block ×3, first 2 shown]
	v_sub_f16_e32 v41, v33, v25
	v_pack_b32_f16 v23, v24, v23
	v_pack_b32_f16 v3, v3, v22
	v_add_u32_e32 v22, 0x980, v47
	v_add_f16_e32 v44, v38, v31
	v_sub_f16_e32 v45, v39, v40
	v_sub_f16_e32 v25, v31, v38
	v_add_f16_e32 v26, v40, v39
	ds_write2_b32 v22, v23, v3 offset0:13 offset1:229
	v_pack_b32_f16 v3, v21, v27
	v_pack_b32_f16 v21, v41, v46
	v_add_u32_e32 v22, 0x1000, v47
	v_pack_b32_f16 v28, v43, v42
	v_pack_b32_f16 v25, v26, v25
	v_add_u32_e32 v26, 0x280, v47
	ds_write2_b32 v22, v3, v21 offset0:29 offset1:245
	v_pack_b32_f16 v3, v45, v44
	ds_write2_b32 v26, v28, v25 offset0:29 offset1:245
	ds_write_b32 v47, v3 offset:5940
.LBB0_17:
	s_or_b64 exec, exec, s[2:3]
	s_waitcnt lgkmcnt(0)
	; wave barrier
	s_waitcnt lgkmcnt(0)
	ds_read_b32 v3, v47
	s_add_u32 s4, s8, 0x1798
	s_addc_u32 s5, s9, 0
	v_sub_u32_e32 v22, 0, v1
	v_cmp_ne_u32_e64 s[0:1], 0, v0
                                        ; implicit-def: $vgpr32
                                        ; implicit-def: $vgpr31
                                        ; implicit-def: $vgpr21
	s_and_saveexec_b64 s[2:3], s[0:1]
	s_xor_b64 s[2:3], exec, s[2:3]
	s_cbranch_execz .LBB0_19
; %bb.18:
	v_mov_b32_e32 v1, 0
	v_lshlrev_b64 v[23:24], 2, v[0:1]
	v_mov_b32_e32 v1, s5
	v_add_co_u32_e64 v23, s[0:1], s4, v23
	v_addc_co_u32_e64 v24, s[0:1], v1, v24, s[0:1]
	global_load_dword v1, v[23:24], off
	ds_read_b32 v21, v22 offset:6048
	s_waitcnt lgkmcnt(0)
	v_sub_f16_e32 v25, v3, v21
	v_add_f16_e32 v23, v21, v3
	v_add_f16_sdwa v24, v21, v3 dst_sel:DWORD dst_unused:UNUSED_PAD src0_sel:WORD_1 src1_sel:WORD_1
	v_sub_f16_sdwa v3, v3, v21 dst_sel:DWORD dst_unused:UNUSED_PAD src0_sel:WORD_1 src1_sel:WORD_1
	v_mul_f16_e32 v25, 0.5, v25
	v_mul_f16_e32 v24, 0.5, v24
	;; [unrolled: 1-line block ×3, first 2 shown]
	s_waitcnt vmcnt(0)
	v_lshrrev_b32_e32 v21, 16, v1
	v_mul_f16_e32 v26, v21, v25
	v_fma_f16 v28, v23, 0.5, v26
	v_fma_f16 v27, v24, v21, v3
	v_fma_f16 v3, v24, v21, -v3
	v_fma_f16 v23, v23, 0.5, -v26
	v_fma_f16 v26, v1, v24, v28
	v_fma_f16 v21, -v1, v25, v27
	v_fma_f16 v31, -v1, v24, v23
	ds_write_b16 v47, v26
	v_fma_f16 v32, -v1, v25, v3
                                        ; implicit-def: $vgpr3
.LBB0_19:
	s_or_saveexec_b64 s[0:1], s[2:3]
	v_sub_u32_e32 v30, 0, v10
	v_sub_u32_e32 v28, 0, v12
	;; [unrolled: 1-line block ×8, first 2 shown]
	s_xor_b64 exec, exec, s[0:1]
	s_cbranch_execz .LBB0_21
; %bb.20:
	v_mov_b32_e32 v21, 0
	ds_read_u16 v10, v21 offset:3026
	s_waitcnt lgkmcnt(1)
	v_add_f16_sdwa v12, v3, v3 dst_sel:DWORD dst_unused:UNUSED_PAD src0_sel:WORD_1 src1_sel:DWORD
	v_sub_f16_sdwa v31, v3, v3 dst_sel:DWORD dst_unused:UNUSED_PAD src0_sel:DWORD src1_sel:WORD_1
	v_mov_b32_e32 v32, 0
	ds_write_b16 v47, v12
	s_waitcnt lgkmcnt(1)
	v_xor_b32_e32 v3, 0x8000, v10
	ds_write_b16 v21, v3 offset:3026
.LBB0_21:
	s_or_b64 exec, exec, s[0:1]
	s_waitcnt lgkmcnt(0)
	v_mov_b32_e32 v3, 0
	v_lshlrev_b64 v[33:34], 2, v[2:3]
	v_mov_b32_e32 v2, s5
	v_add_co_u32_e64 v33, s[0:1], s4, v33
	v_addc_co_u32_e64 v34, s[0:1], v2, v34, s[0:1]
	global_load_dword v2, v[33:34], off
	ds_write_b16 v47, v21 offset:2
	v_mov_b32_e32 v21, v3
	v_lshlrev_b64 v[20:21], 2, v[20:21]
	v_mov_b32_e32 v10, s5
	v_add_co_u32_e64 v20, s[0:1], s4, v20
	v_addc_co_u32_e64 v21, s[0:1], v10, v21, s[0:1]
	global_load_dword v21, v[20:21], off
	v_mov_b32_e32 v10, v3
	v_lshlrev_b64 v[9:10], 2, v[9:10]
	s_mov_b32 s3, 0x5040100
	v_mov_b32_e32 v33, s5
	v_perm_b32 v31, v32, v31, s3
	v_add_co_u32_e64 v9, s[0:1], s4, v9
	ds_write_b32 v22, v31 offset:6048
	v_addc_co_u32_e64 v10, s[0:1], v33, v10, s[0:1]
	ds_read_b32 v31, v56
	ds_read_b32 v32, v22 offset:5796
	global_load_dword v33, v[9:10], off
	v_mov_b32_e32 v12, v3
	v_lshlrev_b64 v[11:12], 2, v[11:12]
	v_mov_b32_e32 v14, v3
	v_mov_b32_e32 v34, s5
	v_lshlrev_b64 v[13:14], 2, v[13:14]
	v_add_co_u32_e64 v9, s[0:1], s4, v11
	v_mov_b32_e32 v16, v3
	v_addc_co_u32_e64 v10, s[0:1], v34, v12, s[0:1]
	v_mov_b32_e32 v35, s5
	v_lshlrev_b64 v[15:16], 2, v[15:16]
	v_add_co_u32_e64 v11, s[0:1], s4, v13
	v_mov_b32_e32 v18, v3
	v_addc_co_u32_e64 v12, s[0:1], v35, v14, s[0:1]
	;; [unrolled: 5-line block ×3, first 2 shown]
	v_mov_b32_e32 v37, s5
	v_lshlrev_b64 v[19:20], 2, v[19:20]
	v_add_co_u32_e64 v15, s[0:1], s4, v17
	v_addc_co_u32_e64 v16, s[0:1], v37, v18, s[0:1]
	v_mov_b32_e32 v38, s5
	v_add_co_u32_e64 v17, s[0:1], s4, v19
	v_addc_co_u32_e64 v18, s[0:1], v38, v20, s[0:1]
	global_load_dword v19, v[9:10], off
	global_load_dword v20, v[11:12], off
	;; [unrolled: 1-line block ×5, first 2 shown]
	s_mov_b32 s2, 0xffff
	s_waitcnt lgkmcnt(0)
	v_pk_add_f16 v9, v31, v32 neg_lo:[0,1] neg_hi:[0,1]
	v_pk_add_f16 v10, v31, v32
	v_bfi_b32 v11, s2, v9, v10
	v_bfi_b32 v9, s2, v10, v9
	v_pk_mul_f16 v10, v11, 0.5 op_sel_hi:[1,0]
	v_pk_mul_f16 v9, v9, 0.5 op_sel_hi:[1,0]
	v_mov_b32_e32 v15, s5
	v_add_u32_e32 v1, v48, v1
	s_waitcnt vmcnt(7)
	v_pk_fma_f16 v11, v2, v10, v9 op_sel:[1,0,0]
	v_pk_mul_f16 v12, v2, v10 op_sel_hi:[0,1]
	v_pk_fma_f16 v13, v2, v10, v9 op_sel:[1,0,0] neg_lo:[1,0,0] neg_hi:[1,0,0]
	v_pk_fma_f16 v2, v2, v10, v9 op_sel:[1,0,0] neg_lo:[0,0,1] neg_hi:[0,0,1]
	v_pk_add_f16 v9, v11, v12 op_sel:[0,1] op_sel_hi:[1,0]
	v_pk_add_f16 v10, v11, v12 op_sel:[0,1] op_sel_hi:[1,0] neg_lo:[0,1] neg_hi:[0,1]
	v_pk_add_f16 v11, v13, v12 op_sel:[0,1] op_sel_hi:[1,0] neg_lo:[0,1] neg_hi:[0,1]
	;; [unrolled: 1-line block ×3, first 2 shown]
	v_bfi_b32 v9, s2, v9, v10
	v_bfi_b32 v2, s2, v11, v2
	ds_write_b32 v56, v9
	ds_write_b32 v22, v2 offset:5796
	ds_read_b32 v2, v29
	ds_read_b32 v9, v22 offset:5544
	s_waitcnt lgkmcnt(0)
	v_pk_add_f16 v10, v2, v9 neg_lo:[0,1] neg_hi:[0,1]
	v_pk_add_f16 v2, v2, v9
	v_bfi_b32 v9, s2, v10, v2
	v_bfi_b32 v2, s2, v2, v10
	v_pk_mul_f16 v9, v9, 0.5 op_sel_hi:[1,0]
	v_pk_mul_f16 v2, v2, 0.5 op_sel_hi:[1,0]
	s_waitcnt vmcnt(6)
	v_pk_fma_f16 v10, v21, v9, v2 op_sel:[1,0,0]
	v_pk_mul_f16 v11, v21, v9 op_sel_hi:[0,1]
	v_pk_add_f16 v12, v10, v11 op_sel:[0,1] op_sel_hi:[1,0]
	v_pk_add_f16 v10, v10, v11 op_sel:[0,1] op_sel_hi:[1,0] neg_lo:[0,1] neg_hi:[0,1]
	v_bfi_b32 v10, s2, v12, v10
	ds_write_b32 v29, v10
	v_pk_fma_f16 v10, v21, v9, v2 op_sel:[1,0,0] neg_lo:[1,0,0] neg_hi:[1,0,0]
	v_pk_fma_f16 v2, v21, v9, v2 op_sel:[1,0,0] neg_lo:[0,0,1] neg_hi:[0,0,1]
	v_pk_add_f16 v10, v10, v11 op_sel:[0,1] op_sel_hi:[1,0] neg_lo:[0,1] neg_hi:[0,1]
	v_pk_add_f16 v2, v2, v11 op_sel:[0,1] op_sel_hi:[1,0] neg_lo:[0,1] neg_hi:[0,1]
	v_bfi_b32 v2, s2, v10, v2
	ds_write_b32 v22, v2 offset:5544
	ds_read_b32 v2, v60
	ds_read_b32 v9, v22 offset:5292
	s_waitcnt lgkmcnt(0)
	v_pk_add_f16 v10, v2, v9 neg_lo:[0,1] neg_hi:[0,1]
	v_pk_add_f16 v2, v2, v9
	v_bfi_b32 v9, s2, v10, v2
	v_bfi_b32 v2, s2, v2, v10
	v_pk_mul_f16 v9, v9, 0.5 op_sel_hi:[1,0]
	v_pk_mul_f16 v2, v2, 0.5 op_sel_hi:[1,0]
	s_waitcnt vmcnt(5)
	v_pk_fma_f16 v10, v33, v9, v2 op_sel:[1,0,0]
	v_pk_mul_f16 v11, v33, v9 op_sel_hi:[0,1]
	v_pk_add_f16 v12, v10, v11 op_sel:[0,1] op_sel_hi:[1,0]
	v_pk_add_f16 v10, v10, v11 op_sel:[0,1] op_sel_hi:[1,0] neg_lo:[0,1] neg_hi:[0,1]
	v_bfi_b32 v10, s2, v12, v10
	ds_write_b32 v60, v10
	v_pk_fma_f16 v10, v33, v9, v2 op_sel:[1,0,0] neg_lo:[1,0,0] neg_hi:[1,0,0]
	v_pk_fma_f16 v2, v33, v9, v2 op_sel:[1,0,0] neg_lo:[0,0,1] neg_hi:[0,0,1]
	v_pk_add_f16 v10, v10, v11 op_sel:[0,1] op_sel_hi:[1,0] neg_lo:[0,1] neg_hi:[0,1]
	v_pk_add_f16 v2, v2, v11 op_sel:[0,1] op_sel_hi:[1,0] neg_lo:[0,1] neg_hi:[0,1]
	v_bfi_b32 v2, s2, v10, v2
	ds_write_b32 v22, v2 offset:5292
	v_add_u32_e32 v2, v55, v30
	ds_read_b32 v9, v2
	ds_read_b32 v10, v22 offset:5040
	s_waitcnt lgkmcnt(0)
	v_pk_add_f16 v11, v9, v10 neg_lo:[0,1] neg_hi:[0,1]
	v_pk_add_f16 v9, v9, v10
	v_bfi_b32 v10, s2, v11, v9
	v_bfi_b32 v9, s2, v9, v11
	v_pk_mul_f16 v10, v10, 0.5 op_sel_hi:[1,0]
	v_pk_mul_f16 v9, v9, 0.5 op_sel_hi:[1,0]
	s_waitcnt vmcnt(4)
	v_pk_fma_f16 v11, v19, v10, v9 op_sel:[1,0,0]
	v_pk_mul_f16 v12, v19, v10 op_sel_hi:[0,1]
	v_pk_add_f16 v13, v11, v12 op_sel:[0,1] op_sel_hi:[1,0]
	v_pk_add_f16 v11, v11, v12 op_sel:[0,1] op_sel_hi:[1,0] neg_lo:[0,1] neg_hi:[0,1]
	v_bfi_b32 v11, s2, v13, v11
	ds_write_b32 v2, v11
	v_pk_fma_f16 v2, v19, v10, v9 op_sel:[1,0,0] neg_lo:[1,0,0] neg_hi:[1,0,0]
	v_pk_fma_f16 v9, v19, v10, v9 op_sel:[1,0,0] neg_lo:[0,0,1] neg_hi:[0,0,1]
	v_pk_add_f16 v2, v2, v12 op_sel:[0,1] op_sel_hi:[1,0] neg_lo:[0,1] neg_hi:[0,1]
	v_pk_add_f16 v9, v9, v12 op_sel:[0,1] op_sel_hi:[1,0] neg_lo:[0,1] neg_hi:[0,1]
	v_bfi_b32 v2, s2, v2, v9
	ds_write_b32 v22, v2 offset:5040
	v_add_u32_e32 v2, v54, v28
	;; [unrolled: 23-line block ×3, first 2 shown]
	ds_read_b32 v9, v2
	ds_read_b32 v10, v22 offset:4536
	s_waitcnt lgkmcnt(0)
	v_pk_add_f16 v11, v9, v10 neg_lo:[0,1] neg_hi:[0,1]
	v_pk_add_f16 v9, v9, v10
	v_bfi_b32 v10, s2, v11, v9
	v_bfi_b32 v9, s2, v9, v11
	v_pk_mul_f16 v10, v10, 0.5 op_sel_hi:[1,0]
	v_pk_mul_f16 v9, v9, 0.5 op_sel_hi:[1,0]
	s_waitcnt vmcnt(2)
	v_pk_fma_f16 v11, v34, v10, v9 op_sel:[1,0,0]
	v_pk_mul_f16 v12, v34, v10 op_sel_hi:[0,1]
	v_pk_add_f16 v13, v11, v12 op_sel:[0,1] op_sel_hi:[1,0]
	v_pk_add_f16 v11, v11, v12 op_sel:[0,1] op_sel_hi:[1,0] neg_lo:[0,1] neg_hi:[0,1]
	v_bfi_b32 v11, s2, v13, v11
	ds_write_b32 v2, v11
	v_pk_fma_f16 v2, v34, v10, v9 op_sel:[1,0,0] neg_lo:[1,0,0] neg_hi:[1,0,0]
	v_pk_fma_f16 v9, v34, v10, v9 op_sel:[1,0,0] neg_lo:[0,0,1] neg_hi:[0,0,1]
	v_pk_add_f16 v2, v2, v12 op_sel:[0,1] op_sel_hi:[1,0] neg_lo:[0,1] neg_hi:[0,1]
	v_pk_add_f16 v9, v9, v12 op_sel:[0,1] op_sel_hi:[1,0] neg_lo:[0,1] neg_hi:[0,1]
	v_bfi_b32 v2, s2, v2, v9
	v_mov_b32_e32 v9, v3
	v_lshlrev_b64 v[8:9], 2, v[8:9]
	ds_write_b32 v22, v2 offset:4536
	v_mov_b32_e32 v2, s5
	v_add_co_u32_e64 v8, s[0:1], s4, v8
	v_addc_co_u32_e64 v9, s[0:1], v2, v9, s[0:1]
	global_load_dword v2, v[8:9], off
	v_add_u32_e32 v9, v52, v26
	ds_read_b32 v8, v9
	ds_read_b32 v10, v22 offset:4284
	s_waitcnt lgkmcnt(0)
	v_pk_add_f16 v11, v8, v10 neg_lo:[0,1] neg_hi:[0,1]
	v_pk_add_f16 v8, v8, v10
	v_bfi_b32 v10, s2, v11, v8
	v_bfi_b32 v8, s2, v8, v11
	v_pk_mul_f16 v10, v10, 0.5 op_sel_hi:[1,0]
	v_pk_mul_f16 v11, v8, 0.5 op_sel_hi:[1,0]
	s_waitcnt vmcnt(2)
	v_pk_fma_f16 v8, v35, v10, v11 op_sel:[1,0,0]
	v_pk_mul_f16 v12, v35, v10 op_sel_hi:[0,1]
	v_pk_add_f16 v13, v8, v12 op_sel:[0,1] op_sel_hi:[1,0]
	v_pk_add_f16 v14, v8, v12 op_sel:[0,1] op_sel_hi:[1,0] neg_lo:[0,1] neg_hi:[0,1]
	v_mov_b32_e32 v8, v3
	v_lshlrev_b64 v[7:8], 2, v[7:8]
	v_add_co_u32_e64 v7, s[0:1], s4, v7
	v_addc_co_u32_e64 v8, s[0:1], v15, v8, s[0:1]
	global_load_dword v8, v[7:8], off
	v_bfi_b32 v7, s2, v13, v14
	ds_write_b32 v9, v7
	v_pk_fma_f16 v7, v35, v10, v11 op_sel:[1,0,0] neg_lo:[1,0,0] neg_hi:[1,0,0]
	v_pk_fma_f16 v9, v35, v10, v11 op_sel:[1,0,0] neg_lo:[0,0,1] neg_hi:[0,0,1]
	v_pk_add_f16 v7, v7, v12 op_sel:[0,1] op_sel_hi:[1,0] neg_lo:[0,1] neg_hi:[0,1]
	v_pk_add_f16 v9, v9, v12 op_sel:[0,1] op_sel_hi:[1,0] neg_lo:[0,1] neg_hi:[0,1]
	v_bfi_b32 v7, s2, v7, v9
	ds_write_b32 v22, v7 offset:4284
	v_add_u32_e32 v9, v51, v25
	ds_read_b32 v7, v9
	ds_read_b32 v10, v22 offset:4032
	v_mov_b32_e32 v12, s5
	s_waitcnt lgkmcnt(0)
	v_pk_add_f16 v11, v7, v10 neg_lo:[0,1] neg_hi:[0,1]
	v_pk_add_f16 v10, v7, v10
	v_mov_b32_e32 v7, v3
	v_lshlrev_b64 v[6:7], 2, v[6:7]
	v_add_co_u32_e64 v6, s[0:1], s4, v6
	v_addc_co_u32_e64 v7, s[0:1], v12, v7, s[0:1]
	global_load_dword v6, v[6:7], off
	v_bfi_b32 v7, s2, v11, v10
	v_bfi_b32 v10, s2, v10, v11
	v_pk_mul_f16 v7, v7, 0.5 op_sel_hi:[1,0]
	v_pk_mul_f16 v10, v10, 0.5 op_sel_hi:[1,0]
	s_waitcnt vmcnt(3)
	v_pk_fma_f16 v11, v36, v7, v10 op_sel:[1,0,0]
	v_pk_mul_f16 v12, v36, v7 op_sel_hi:[0,1]
	v_pk_add_f16 v13, v11, v12 op_sel:[0,1] op_sel_hi:[1,0]
	v_pk_add_f16 v11, v11, v12 op_sel:[0,1] op_sel_hi:[1,0] neg_lo:[0,1] neg_hi:[0,1]
	v_bfi_b32 v11, s2, v13, v11
	ds_write_b32 v9, v11
	v_pk_fma_f16 v9, v36, v7, v10 op_sel:[1,0,0] neg_lo:[1,0,0] neg_hi:[1,0,0]
	v_pk_fma_f16 v7, v36, v7, v10 op_sel:[1,0,0] neg_lo:[0,0,1] neg_hi:[0,0,1]
	v_pk_add_f16 v9, v9, v12 op_sel:[0,1] op_sel_hi:[1,0] neg_lo:[0,1] neg_hi:[0,1]
	v_pk_add_f16 v7, v7, v12 op_sel:[0,1] op_sel_hi:[1,0] neg_lo:[0,1] neg_hi:[0,1]
	v_bfi_b32 v7, s2, v9, v7
	ds_write_b32 v22, v7 offset:4032
	v_add_u32_e32 v7, v50, v24
	ds_read_b32 v9, v7
	ds_read_b32 v10, v22 offset:3780
	s_waitcnt lgkmcnt(0)
	v_pk_add_f16 v11, v9, v10 neg_lo:[0,1] neg_hi:[0,1]
	v_pk_add_f16 v9, v9, v10
	v_bfi_b32 v10, s2, v11, v9
	v_bfi_b32 v9, s2, v9, v11
	v_pk_mul_f16 v10, v10, 0.5 op_sel_hi:[1,0]
	v_pk_mul_f16 v9, v9, 0.5 op_sel_hi:[1,0]
	s_waitcnt vmcnt(2)
	v_pk_fma_f16 v11, v2, v10, v9 op_sel:[1,0,0]
	v_pk_mul_f16 v12, v2, v10 op_sel_hi:[0,1]
	v_pk_add_f16 v13, v11, v12 op_sel:[0,1] op_sel_hi:[1,0]
	v_pk_add_f16 v11, v11, v12 op_sel:[0,1] op_sel_hi:[1,0] neg_lo:[0,1] neg_hi:[0,1]
	v_bfi_b32 v11, s2, v13, v11
	ds_write_b32 v7, v11
	v_pk_fma_f16 v7, v2, v10, v9 op_sel:[1,0,0] neg_lo:[1,0,0] neg_hi:[1,0,0]
	v_pk_fma_f16 v2, v2, v10, v9 op_sel:[1,0,0] neg_lo:[0,0,1] neg_hi:[0,0,1]
	v_pk_add_f16 v7, v7, v12 op_sel:[0,1] op_sel_hi:[1,0] neg_lo:[0,1] neg_hi:[0,1]
	v_pk_add_f16 v2, v2, v12 op_sel:[0,1] op_sel_hi:[1,0] neg_lo:[0,1] neg_hi:[0,1]
	v_bfi_b32 v2, s2, v7, v2
	ds_write_b32 v22, v2 offset:3780
	v_add_u32_e32 v2, v49, v23
	ds_read_b32 v7, v2
	ds_read_b32 v9, v22 offset:3528
	s_waitcnt lgkmcnt(0)
	v_pk_add_f16 v10, v7, v9 neg_lo:[0,1] neg_hi:[0,1]
	v_pk_add_f16 v7, v7, v9
	v_bfi_b32 v9, s2, v10, v7
	v_bfi_b32 v7, s2, v7, v10
	v_pk_mul_f16 v9, v9, 0.5 op_sel_hi:[1,0]
	v_pk_mul_f16 v7, v7, 0.5 op_sel_hi:[1,0]
	s_waitcnt vmcnt(1)
	v_pk_fma_f16 v10, v8, v9, v7 op_sel:[1,0,0]
	v_pk_mul_f16 v11, v8, v9 op_sel_hi:[0,1]
	v_pk_add_f16 v12, v10, v11 op_sel:[0,1] op_sel_hi:[1,0]
	v_pk_add_f16 v10, v10, v11 op_sel:[0,1] op_sel_hi:[1,0] neg_lo:[0,1] neg_hi:[0,1]
	v_bfi_b32 v10, s2, v12, v10
	ds_write_b32 v2, v10
	v_pk_fma_f16 v2, v8, v9, v7 op_sel:[1,0,0] neg_lo:[1,0,0] neg_hi:[1,0,0]
	v_pk_fma_f16 v7, v8, v9, v7 op_sel:[1,0,0] neg_lo:[0,0,1] neg_hi:[0,0,1]
	v_pk_add_f16 v2, v2, v11 op_sel:[0,1] op_sel_hi:[1,0] neg_lo:[0,1] neg_hi:[0,1]
	v_pk_add_f16 v7, v7, v11 op_sel:[0,1] op_sel_hi:[1,0] neg_lo:[0,1] neg_hi:[0,1]
	v_bfi_b32 v2, s2, v2, v7
	ds_write_b32 v22, v2 offset:3528
	ds_read_b32 v2, v1
	ds_read_b32 v7, v22 offset:3276
	s_waitcnt lgkmcnt(0)
	v_pk_add_f16 v8, v2, v7 neg_lo:[0,1] neg_hi:[0,1]
	v_pk_add_f16 v2, v2, v7
	v_bfi_b32 v7, s2, v8, v2
	v_bfi_b32 v2, s2, v2, v8
	v_pk_mul_f16 v7, v7, 0.5 op_sel_hi:[1,0]
	v_pk_mul_f16 v2, v2, 0.5 op_sel_hi:[1,0]
	s_waitcnt vmcnt(0)
	v_pk_fma_f16 v8, v6, v7, v2 op_sel:[1,0,0]
	v_pk_mul_f16 v9, v6, v7 op_sel_hi:[0,1]
	v_pk_add_f16 v10, v8, v9 op_sel:[0,1] op_sel_hi:[1,0]
	v_pk_add_f16 v8, v8, v9 op_sel:[0,1] op_sel_hi:[1,0] neg_lo:[0,1] neg_hi:[0,1]
	v_bfi_b32 v8, s2, v10, v8
	ds_write_b32 v1, v8
	v_pk_fma_f16 v1, v6, v7, v2 op_sel:[1,0,0] neg_lo:[1,0,0] neg_hi:[1,0,0]
	v_pk_fma_f16 v2, v6, v7, v2 op_sel:[1,0,0] neg_lo:[0,0,1] neg_hi:[0,0,1]
	v_pk_add_f16 v1, v1, v9 op_sel:[0,1] op_sel_hi:[1,0] neg_lo:[0,1] neg_hi:[0,1]
	v_pk_add_f16 v2, v2, v9 op_sel:[0,1] op_sel_hi:[1,0] neg_lo:[0,1] neg_hi:[0,1]
	v_bfi_b32 v1, s2, v1, v2
	ds_write_b32 v22, v1 offset:3276
	s_waitcnt lgkmcnt(0)
	; wave barrier
	s_waitcnt lgkmcnt(0)
	s_and_saveexec_b64 s[0:1], vcc
	s_cbranch_execz .LBB0_24
; %bb.22:
	v_mov_b32_e32 v1, v3
	ds_read2_b32 v[6:7], v47 offset1:63
	v_mov_b32_e32 v2, s13
	v_add_co_u32_e32 v3, vcc, s12, v4
	v_addc_co_u32_e32 v2, vcc, v2, v5, vcc
	v_lshlrev_b64 v[4:5], 2, v[0:1]
	ds_read2_b32 v[8:9], v47 offset0:126 offset1:189
	v_add_co_u32_e32 v4, vcc, v3, v4
	v_add_u32_e32 v1, 0x200, v47
	v_addc_co_u32_e32 v5, vcc, v2, v5, vcc
	ds_read2_b32 v[10:11], v1 offset0:124 offset1:187
	s_waitcnt lgkmcnt(2)
	global_store_dword v[4:5], v6, off
	global_store_dword v[4:5], v7, off offset:252
	s_waitcnt lgkmcnt(1)
	global_store_dword v[4:5], v8, off offset:504
	global_store_dword v[4:5], v9, off offset:756
	s_waitcnt lgkmcnt(0)
	global_store_dword v[4:5], v10, off offset:1008
	global_store_dword v[4:5], v11, off offset:1260
	v_add_u32_e32 v1, 0x400, v47
	ds_read2_b32 v[6:7], v1 offset0:122 offset1:185
	v_add_u32_e32 v1, 0x600, v47
	ds_read2_b32 v[8:9], v1 offset0:120 offset1:183
	;; [unrolled: 2-line block ×3, first 2 shown]
	s_waitcnt lgkmcnt(2)
	global_store_dword v[4:5], v6, off offset:1512
	global_store_dword v[4:5], v7, off offset:1764
	s_waitcnt lgkmcnt(1)
	global_store_dword v[4:5], v8, off offset:2016
	global_store_dword v[4:5], v9, off offset:2268
	;; [unrolled: 3-line block ×3, first 2 shown]
	v_add_u32_e32 v1, 0xa00, v47
	ds_read2_b32 v[6:7], v1 offset0:116 offset1:179
	v_add_u32_e32 v1, 0xc00, v47
	ds_read2_b32 v[8:9], v1 offset0:114 offset1:177
	;; [unrolled: 2-line block ×3, first 2 shown]
	s_waitcnt lgkmcnt(2)
	global_store_dword v[4:5], v6, off offset:3024
	global_store_dword v[4:5], v7, off offset:3276
	s_waitcnt lgkmcnt(1)
	global_store_dword v[4:5], v8, off offset:3528
	global_store_dword v[4:5], v9, off offset:3780
	s_waitcnt lgkmcnt(0)
	global_store_dword v[4:5], v10, off offset:4032
	v_add_u32_e32 v1, 0x1000, v47
	ds_read2_b32 v[6:7], v1 offset0:110 offset1:173
	s_movk_i32 s0, 0x1000
	v_add_u32_e32 v1, 0x1200, v47
	v_add_co_u32_e32 v4, vcc, s0, v4
	ds_read2_b32 v[8:9], v1 offset0:108 offset1:171
	v_addc_co_u32_e32 v5, vcc, 0, v5, vcc
	v_add_u32_e32 v1, 0x1400, v47
	global_store_dword v[4:5], v11, off offset:188
	ds_read2_b32 v[10:11], v1 offset0:106 offset1:169
	v_cmp_eq_u32_e32 vcc, 62, v0
	s_waitcnt lgkmcnt(2)
	global_store_dword v[4:5], v6, off offset:440
	global_store_dword v[4:5], v7, off offset:692
	s_waitcnt lgkmcnt(1)
	global_store_dword v[4:5], v8, off offset:944
	global_store_dword v[4:5], v9, off offset:1196
	;; [unrolled: 3-line block ×3, first 2 shown]
	s_and_b64 exec, exec, vcc
	s_cbranch_execz .LBB0_24
; %bb.23:
	v_mov_b32_e32 v0, 0
	ds_read_b32 v4, v0 offset:6048
	v_add_co_u32_e32 v0, vcc, 0x1000, v3
	v_addc_co_u32_e32 v1, vcc, 0, v2, vcc
	s_waitcnt lgkmcnt(0)
	global_store_dword v[0:1], v4, off offset:1952
.LBB0_24:
	s_endpgm
	.section	.rodata,"a",@progbits
	.p2align	6, 0x0
	.amdhsa_kernel fft_rtc_back_len1512_factors_2_2_2_3_3_3_7_wgs_63_tpt_63_halfLds_half_ip_CI_unitstride_sbrr_R2C_dirReg
		.amdhsa_group_segment_fixed_size 0
		.amdhsa_private_segment_fixed_size 0
		.amdhsa_kernarg_size 88
		.amdhsa_user_sgpr_count 6
		.amdhsa_user_sgpr_private_segment_buffer 1
		.amdhsa_user_sgpr_dispatch_ptr 0
		.amdhsa_user_sgpr_queue_ptr 0
		.amdhsa_user_sgpr_kernarg_segment_ptr 1
		.amdhsa_user_sgpr_dispatch_id 0
		.amdhsa_user_sgpr_flat_scratch_init 0
		.amdhsa_user_sgpr_private_segment_size 0
		.amdhsa_uses_dynamic_stack 0
		.amdhsa_system_sgpr_private_segment_wavefront_offset 0
		.amdhsa_system_sgpr_workgroup_id_x 1
		.amdhsa_system_sgpr_workgroup_id_y 0
		.amdhsa_system_sgpr_workgroup_id_z 0
		.amdhsa_system_sgpr_workgroup_info 0
		.amdhsa_system_vgpr_workitem_id 0
		.amdhsa_next_free_vgpr 119
		.amdhsa_next_free_sgpr 22
		.amdhsa_reserve_vcc 1
		.amdhsa_reserve_flat_scratch 0
		.amdhsa_float_round_mode_32 0
		.amdhsa_float_round_mode_16_64 0
		.amdhsa_float_denorm_mode_32 3
		.amdhsa_float_denorm_mode_16_64 3
		.amdhsa_dx10_clamp 1
		.amdhsa_ieee_mode 1
		.amdhsa_fp16_overflow 0
		.amdhsa_exception_fp_ieee_invalid_op 0
		.amdhsa_exception_fp_denorm_src 0
		.amdhsa_exception_fp_ieee_div_zero 0
		.amdhsa_exception_fp_ieee_overflow 0
		.amdhsa_exception_fp_ieee_underflow 0
		.amdhsa_exception_fp_ieee_inexact 0
		.amdhsa_exception_int_div_zero 0
	.end_amdhsa_kernel
	.text
.Lfunc_end0:
	.size	fft_rtc_back_len1512_factors_2_2_2_3_3_3_7_wgs_63_tpt_63_halfLds_half_ip_CI_unitstride_sbrr_R2C_dirReg, .Lfunc_end0-fft_rtc_back_len1512_factors_2_2_2_3_3_3_7_wgs_63_tpt_63_halfLds_half_ip_CI_unitstride_sbrr_R2C_dirReg
                                        ; -- End function
	.section	.AMDGPU.csdata,"",@progbits
; Kernel info:
; codeLenInByte = 18360
; NumSgprs: 26
; NumVgprs: 119
; ScratchSize: 0
; MemoryBound: 0
; FloatMode: 240
; IeeeMode: 1
; LDSByteSize: 0 bytes/workgroup (compile time only)
; SGPRBlocks: 3
; VGPRBlocks: 29
; NumSGPRsForWavesPerEU: 26
; NumVGPRsForWavesPerEU: 119
; Occupancy: 2
; WaveLimiterHint : 1
; COMPUTE_PGM_RSRC2:SCRATCH_EN: 0
; COMPUTE_PGM_RSRC2:USER_SGPR: 6
; COMPUTE_PGM_RSRC2:TRAP_HANDLER: 0
; COMPUTE_PGM_RSRC2:TGID_X_EN: 1
; COMPUTE_PGM_RSRC2:TGID_Y_EN: 0
; COMPUTE_PGM_RSRC2:TGID_Z_EN: 0
; COMPUTE_PGM_RSRC2:TIDIG_COMP_CNT: 0
	.type	__hip_cuid_26e313ec98fac63d,@object ; @__hip_cuid_26e313ec98fac63d
	.section	.bss,"aw",@nobits
	.globl	__hip_cuid_26e313ec98fac63d
__hip_cuid_26e313ec98fac63d:
	.byte	0                               ; 0x0
	.size	__hip_cuid_26e313ec98fac63d, 1

	.ident	"AMD clang version 19.0.0git (https://github.com/RadeonOpenCompute/llvm-project roc-6.4.0 25133 c7fe45cf4b819c5991fe208aaa96edf142730f1d)"
	.section	".note.GNU-stack","",@progbits
	.addrsig
	.addrsig_sym __hip_cuid_26e313ec98fac63d
	.amdgpu_metadata
---
amdhsa.kernels:
  - .args:
      - .actual_access:  read_only
        .address_space:  global
        .offset:         0
        .size:           8
        .value_kind:     global_buffer
      - .offset:         8
        .size:           8
        .value_kind:     by_value
      - .actual_access:  read_only
        .address_space:  global
        .offset:         16
        .size:           8
        .value_kind:     global_buffer
      - .actual_access:  read_only
        .address_space:  global
        .offset:         24
        .size:           8
        .value_kind:     global_buffer
      - .offset:         32
        .size:           8
        .value_kind:     by_value
      - .actual_access:  read_only
        .address_space:  global
        .offset:         40
        .size:           8
        .value_kind:     global_buffer
      - .actual_access:  read_only
        .address_space:  global
        .offset:         48
        .size:           8
        .value_kind:     global_buffer
      - .offset:         56
        .size:           4
        .value_kind:     by_value
      - .actual_access:  read_only
        .address_space:  global
        .offset:         64
        .size:           8
        .value_kind:     global_buffer
      - .actual_access:  read_only
        .address_space:  global
        .offset:         72
        .size:           8
        .value_kind:     global_buffer
      - .address_space:  global
        .offset:         80
        .size:           8
        .value_kind:     global_buffer
    .group_segment_fixed_size: 0
    .kernarg_segment_align: 8
    .kernarg_segment_size: 88
    .language:       OpenCL C
    .language_version:
      - 2
      - 0
    .max_flat_workgroup_size: 63
    .name:           fft_rtc_back_len1512_factors_2_2_2_3_3_3_7_wgs_63_tpt_63_halfLds_half_ip_CI_unitstride_sbrr_R2C_dirReg
    .private_segment_fixed_size: 0
    .sgpr_count:     26
    .sgpr_spill_count: 0
    .symbol:         fft_rtc_back_len1512_factors_2_2_2_3_3_3_7_wgs_63_tpt_63_halfLds_half_ip_CI_unitstride_sbrr_R2C_dirReg.kd
    .uniform_work_group_size: 1
    .uses_dynamic_stack: false
    .vgpr_count:     119
    .vgpr_spill_count: 0
    .wavefront_size: 64
amdhsa.target:   amdgcn-amd-amdhsa--gfx906
amdhsa.version:
  - 1
  - 2
...

	.end_amdgpu_metadata
